;; amdgpu-corpus repo=ROCm/rocFFT kind=compiled arch=gfx1030 opt=O3
	.text
	.amdgcn_target "amdgcn-amd-amdhsa--gfx1030"
	.amdhsa_code_object_version 6
	.protected	fft_rtc_fwd_len2000_factors_5_5_5_16_wgs_125_tpt_125_halfLds_dp_op_CI_CI_unitstride_sbrr_R2C_dirReg ; -- Begin function fft_rtc_fwd_len2000_factors_5_5_5_16_wgs_125_tpt_125_halfLds_dp_op_CI_CI_unitstride_sbrr_R2C_dirReg
	.globl	fft_rtc_fwd_len2000_factors_5_5_5_16_wgs_125_tpt_125_halfLds_dp_op_CI_CI_unitstride_sbrr_R2C_dirReg
	.p2align	8
	.type	fft_rtc_fwd_len2000_factors_5_5_5_16_wgs_125_tpt_125_halfLds_dp_op_CI_CI_unitstride_sbrr_R2C_dirReg,@function
fft_rtc_fwd_len2000_factors_5_5_5_16_wgs_125_tpt_125_halfLds_dp_op_CI_CI_unitstride_sbrr_R2C_dirReg: ; @fft_rtc_fwd_len2000_factors_5_5_5_16_wgs_125_tpt_125_halfLds_dp_op_CI_CI_unitstride_sbrr_R2C_dirReg
; %bb.0:
	s_clause 0x2
	s_load_dwordx4 s[12:15], s[4:5], 0x0
	s_load_dwordx4 s[8:11], s[4:5], 0x58
	;; [unrolled: 1-line block ×3, first 2 shown]
	v_mul_u32_u24_e32 v1, 0x20d, v0
	v_mov_b32_e32 v3, 0
	v_add_nc_u32_sdwa v5, s6, v1 dst_sel:DWORD dst_unused:UNUSED_PAD src0_sel:DWORD src1_sel:WORD_1
	v_mov_b32_e32 v1, 0
	v_mov_b32_e32 v6, v3
	v_mov_b32_e32 v2, 0
	s_waitcnt lgkmcnt(0)
	v_cmp_lt_u64_e64 s0, s[14:15], 2
	s_and_b32 vcc_lo, exec_lo, s0
	s_cbranch_vccnz .LBB0_8
; %bb.1:
	s_load_dwordx2 s[0:1], s[4:5], 0x10
	v_mov_b32_e32 v1, 0
	v_mov_b32_e32 v2, 0
	s_add_u32 s2, s18, 8
	s_addc_u32 s3, s19, 0
	s_add_u32 s6, s16, 8
	s_addc_u32 s7, s17, 0
	v_mov_b32_e32 v145, v2
	v_mov_b32_e32 v144, v1
	s_mov_b64 s[22:23], 1
	s_waitcnt lgkmcnt(0)
	s_add_u32 s20, s0, 8
	s_addc_u32 s21, s1, 0
.LBB0_2:                                ; =>This Inner Loop Header: Depth=1
	s_load_dwordx2 s[24:25], s[20:21], 0x0
                                        ; implicit-def: $vgpr148_vgpr149
	s_mov_b32 s0, exec_lo
	s_waitcnt lgkmcnt(0)
	v_or_b32_e32 v4, s25, v6
	v_cmpx_ne_u64_e32 0, v[3:4]
	s_xor_b32 s1, exec_lo, s0
	s_cbranch_execz .LBB0_4
; %bb.3:                                ;   in Loop: Header=BB0_2 Depth=1
	v_cvt_f32_u32_e32 v4, s24
	v_cvt_f32_u32_e32 v7, s25
	s_sub_u32 s0, 0, s24
	s_subb_u32 s26, 0, s25
	v_fmac_f32_e32 v4, 0x4f800000, v7
	v_rcp_f32_e32 v4, v4
	v_mul_f32_e32 v4, 0x5f7ffffc, v4
	v_mul_f32_e32 v7, 0x2f800000, v4
	v_trunc_f32_e32 v7, v7
	v_fmac_f32_e32 v4, 0xcf800000, v7
	v_cvt_u32_f32_e32 v7, v7
	v_cvt_u32_f32_e32 v4, v4
	v_mul_lo_u32 v8, s0, v7
	v_mul_hi_u32 v9, s0, v4
	v_mul_lo_u32 v10, s26, v4
	v_add_nc_u32_e32 v8, v9, v8
	v_mul_lo_u32 v9, s0, v4
	v_add_nc_u32_e32 v8, v8, v10
	v_mul_hi_u32 v10, v4, v9
	v_mul_lo_u32 v11, v4, v8
	v_mul_hi_u32 v12, v4, v8
	v_mul_hi_u32 v13, v7, v9
	v_mul_lo_u32 v9, v7, v9
	v_mul_hi_u32 v14, v7, v8
	v_mul_lo_u32 v8, v7, v8
	v_add_co_u32 v10, vcc_lo, v10, v11
	v_add_co_ci_u32_e32 v11, vcc_lo, 0, v12, vcc_lo
	v_add_co_u32 v9, vcc_lo, v10, v9
	v_add_co_ci_u32_e32 v9, vcc_lo, v11, v13, vcc_lo
	v_add_co_ci_u32_e32 v10, vcc_lo, 0, v14, vcc_lo
	v_add_co_u32 v8, vcc_lo, v9, v8
	v_add_co_ci_u32_e32 v9, vcc_lo, 0, v10, vcc_lo
	v_add_co_u32 v4, vcc_lo, v4, v8
	v_add_co_ci_u32_e32 v7, vcc_lo, v7, v9, vcc_lo
	v_mul_hi_u32 v8, s0, v4
	v_mul_lo_u32 v10, s26, v4
	v_mul_lo_u32 v9, s0, v7
	v_add_nc_u32_e32 v8, v8, v9
	v_mul_lo_u32 v9, s0, v4
	v_add_nc_u32_e32 v8, v8, v10
	v_mul_hi_u32 v10, v4, v9
	v_mul_lo_u32 v11, v4, v8
	v_mul_hi_u32 v12, v4, v8
	v_mul_hi_u32 v13, v7, v9
	v_mul_lo_u32 v9, v7, v9
	v_mul_hi_u32 v14, v7, v8
	v_mul_lo_u32 v8, v7, v8
	v_add_co_u32 v10, vcc_lo, v10, v11
	v_add_co_ci_u32_e32 v11, vcc_lo, 0, v12, vcc_lo
	v_add_co_u32 v9, vcc_lo, v10, v9
	v_add_co_ci_u32_e32 v9, vcc_lo, v11, v13, vcc_lo
	v_add_co_ci_u32_e32 v10, vcc_lo, 0, v14, vcc_lo
	v_add_co_u32 v8, vcc_lo, v9, v8
	v_add_co_ci_u32_e32 v9, vcc_lo, 0, v10, vcc_lo
	v_add_co_u32 v4, vcc_lo, v4, v8
	v_add_co_ci_u32_e32 v11, vcc_lo, v7, v9, vcc_lo
	v_mul_hi_u32 v13, v5, v4
	v_mad_u64_u32 v[9:10], null, v6, v4, 0
	v_mad_u64_u32 v[7:8], null, v5, v11, 0
	;; [unrolled: 1-line block ×3, first 2 shown]
	v_add_co_u32 v4, vcc_lo, v13, v7
	v_add_co_ci_u32_e32 v7, vcc_lo, 0, v8, vcc_lo
	v_add_co_u32 v4, vcc_lo, v4, v9
	v_add_co_ci_u32_e32 v4, vcc_lo, v7, v10, vcc_lo
	v_add_co_ci_u32_e32 v7, vcc_lo, 0, v12, vcc_lo
	v_add_co_u32 v4, vcc_lo, v4, v11
	v_add_co_ci_u32_e32 v9, vcc_lo, 0, v7, vcc_lo
	v_mul_lo_u32 v10, s25, v4
	v_mad_u64_u32 v[7:8], null, s24, v4, 0
	v_mul_lo_u32 v11, s24, v9
	v_sub_co_u32 v7, vcc_lo, v5, v7
	v_add3_u32 v8, v8, v11, v10
	v_sub_nc_u32_e32 v10, v6, v8
	v_subrev_co_ci_u32_e64 v10, s0, s25, v10, vcc_lo
	v_add_co_u32 v11, s0, v4, 2
	v_add_co_ci_u32_e64 v12, s0, 0, v9, s0
	v_sub_co_u32 v13, s0, v7, s24
	v_sub_co_ci_u32_e32 v8, vcc_lo, v6, v8, vcc_lo
	v_subrev_co_ci_u32_e64 v10, s0, 0, v10, s0
	v_cmp_le_u32_e32 vcc_lo, s24, v13
	v_cmp_eq_u32_e64 s0, s25, v8
	v_cndmask_b32_e64 v13, 0, -1, vcc_lo
	v_cmp_le_u32_e32 vcc_lo, s25, v10
	v_cndmask_b32_e64 v14, 0, -1, vcc_lo
	v_cmp_le_u32_e32 vcc_lo, s24, v7
	;; [unrolled: 2-line block ×3, first 2 shown]
	v_cndmask_b32_e64 v15, 0, -1, vcc_lo
	v_cmp_eq_u32_e32 vcc_lo, s25, v10
	v_cndmask_b32_e64 v7, v15, v7, s0
	v_cndmask_b32_e32 v10, v14, v13, vcc_lo
	v_add_co_u32 v13, vcc_lo, v4, 1
	v_add_co_ci_u32_e32 v14, vcc_lo, 0, v9, vcc_lo
	v_cmp_ne_u32_e32 vcc_lo, 0, v10
	v_cndmask_b32_e32 v8, v14, v12, vcc_lo
	v_cndmask_b32_e32 v10, v13, v11, vcc_lo
	v_cmp_ne_u32_e32 vcc_lo, 0, v7
	v_cndmask_b32_e32 v149, v9, v8, vcc_lo
	v_cndmask_b32_e32 v148, v4, v10, vcc_lo
.LBB0_4:                                ;   in Loop: Header=BB0_2 Depth=1
	s_andn2_saveexec_b32 s0, s1
	s_cbranch_execz .LBB0_6
; %bb.5:                                ;   in Loop: Header=BB0_2 Depth=1
	v_cvt_f32_u32_e32 v4, s24
	s_sub_i32 s1, 0, s24
	v_mov_b32_e32 v149, v3
	v_rcp_iflag_f32_e32 v4, v4
	v_mul_f32_e32 v4, 0x4f7ffffe, v4
	v_cvt_u32_f32_e32 v4, v4
	v_mul_lo_u32 v7, s1, v4
	v_mul_hi_u32 v7, v4, v7
	v_add_nc_u32_e32 v4, v4, v7
	v_mul_hi_u32 v4, v5, v4
	v_mul_lo_u32 v7, v4, s24
	v_add_nc_u32_e32 v8, 1, v4
	v_sub_nc_u32_e32 v7, v5, v7
	v_subrev_nc_u32_e32 v9, s24, v7
	v_cmp_le_u32_e32 vcc_lo, s24, v7
	v_cndmask_b32_e32 v7, v7, v9, vcc_lo
	v_cndmask_b32_e32 v4, v4, v8, vcc_lo
	v_cmp_le_u32_e32 vcc_lo, s24, v7
	v_add_nc_u32_e32 v8, 1, v4
	v_cndmask_b32_e32 v148, v4, v8, vcc_lo
.LBB0_6:                                ;   in Loop: Header=BB0_2 Depth=1
	s_or_b32 exec_lo, exec_lo, s0
	v_mul_lo_u32 v4, v149, s24
	v_mul_lo_u32 v9, v148, s25
	s_load_dwordx2 s[0:1], s[6:7], 0x0
	v_mad_u64_u32 v[7:8], null, v148, s24, 0
	s_load_dwordx2 s[24:25], s[2:3], 0x0
	s_add_u32 s22, s22, 1
	s_addc_u32 s23, s23, 0
	s_add_u32 s2, s2, 8
	s_addc_u32 s3, s3, 0
	s_add_u32 s6, s6, 8
	v_add3_u32 v4, v8, v9, v4
	v_sub_co_u32 v5, vcc_lo, v5, v7
	s_addc_u32 s7, s7, 0
	s_add_u32 s20, s20, 8
	v_sub_co_ci_u32_e32 v4, vcc_lo, v6, v4, vcc_lo
	s_addc_u32 s21, s21, 0
	s_waitcnt lgkmcnt(0)
	v_mul_lo_u32 v6, s0, v4
	v_mul_lo_u32 v7, s1, v5
	v_mad_u64_u32 v[1:2], null, s0, v5, v[1:2]
	v_mul_lo_u32 v4, s24, v4
	v_mul_lo_u32 v8, s25, v5
	v_mad_u64_u32 v[144:145], null, s24, v5, v[144:145]
	v_cmp_ge_u64_e64 s0, s[22:23], s[14:15]
	v_add3_u32 v2, v7, v2, v6
	v_add3_u32 v145, v8, v145, v4
	s_and_b32 vcc_lo, exec_lo, s0
	s_cbranch_vccnz .LBB0_9
; %bb.7:                                ;   in Loop: Header=BB0_2 Depth=1
	v_mov_b32_e32 v5, v148
	v_mov_b32_e32 v6, v149
	s_branch .LBB0_2
.LBB0_8:
	v_mov_b32_e32 v145, v2
	v_mov_b32_e32 v149, v6
	;; [unrolled: 1-line block ×4, first 2 shown]
.LBB0_9:
	s_load_dwordx2 s[0:1], s[4:5], 0x28
	v_mul_hi_u32 v3, 0x20c49bb, v0
	s_lshl_b64 s[4:5], s[14:15], 3
                                        ; implicit-def: $vgpr146
                                        ; implicit-def: $vgpr150
                                        ; implicit-def: $vgpr153
                                        ; implicit-def: $vgpr152
	s_add_u32 s2, s18, s4
	s_addc_u32 s3, s19, s5
	s_waitcnt lgkmcnt(0)
	v_cmp_gt_u64_e32 vcc_lo, s[0:1], v[148:149]
	v_cmp_le_u64_e64 s0, s[0:1], v[148:149]
	s_and_saveexec_b32 s1, s0
	s_xor_b32 s0, exec_lo, s1
; %bb.10:
	v_mul_u32_u24_e32 v1, 0x7d, v3
                                        ; implicit-def: $vgpr3
	v_sub_nc_u32_e32 v146, v0, v1
                                        ; implicit-def: $vgpr0
                                        ; implicit-def: $vgpr1_vgpr2
	v_add_nc_u32_e32 v150, 0x7d, v146
	v_add_nc_u32_e32 v153, 0xfa, v146
	;; [unrolled: 1-line block ×3, first 2 shown]
; %bb.11:
	s_andn2_saveexec_b32 s1, s0
	s_cbranch_execz .LBB0_13
; %bb.12:
	s_add_u32 s4, s16, s4
	s_addc_u32 s5, s17, s5
	v_lshlrev_b64 v[1:2], 4, v[1:2]
	s_load_dwordx2 s[4:5], s[4:5], 0x0
	s_waitcnt lgkmcnt(0)
	v_mul_lo_u32 v6, s5, v148
	v_mul_lo_u32 v7, s4, v149
	v_mad_u64_u32 v[4:5], null, s4, v148, 0
	v_add3_u32 v5, v5, v7, v6
	v_mul_u32_u24_e32 v6, 0x7d, v3
	v_lshlrev_b64 v[3:4], 4, v[4:5]
	v_sub_nc_u32_e32 v146, v0, v6
	v_lshlrev_b32_e32 v64, 4, v146
	v_add_co_u32 v0, s0, s8, v3
	v_add_co_ci_u32_e64 v3, s0, s9, v4, s0
	v_add_nc_u32_e32 v150, 0x7d, v146
	v_add_co_u32 v0, s0, v0, v1
	v_add_co_ci_u32_e64 v1, s0, v3, v2, s0
	v_add_nc_u32_e32 v153, 0xfa, v146
	v_add_co_u32 v8, s0, v0, v64
	v_add_co_ci_u32_e64 v9, s0, 0, v1, s0
	s_clause 0x1
	global_load_dwordx4 v[0:3], v[8:9], off
	global_load_dwordx4 v[4:7], v[8:9], off offset:2000
	v_add_co_u32 v10, s0, 0x800, v8
	v_add_co_ci_u32_e64 v11, s0, 0, v9, s0
	v_add_co_u32 v12, s0, 0x1000, v8
	v_add_co_ci_u32_e64 v13, s0, 0, v9, s0
	;; [unrolled: 2-line block ×14, first 2 shown]
	s_clause 0xd
	global_load_dwordx4 v[8:11], v[10:11], off offset:1952
	global_load_dwordx4 v[12:15], v[12:13], off offset:1904
	;; [unrolled: 1-line block ×14, first 2 shown]
	v_add_nc_u32_e32 v64, 0, v64
	v_add_nc_u32_e32 v152, 0x177, v146
	s_waitcnt vmcnt(15)
	ds_write_b128 v64, v[0:3]
	s_waitcnt vmcnt(14)
	ds_write_b128 v64, v[4:7] offset:2000
	s_waitcnt vmcnt(13)
	ds_write_b128 v64, v[8:11] offset:4000
	;; [unrolled: 2-line block ×15, first 2 shown]
.LBB0_13:
	s_or_b32 exec_lo, exec_lo, s1
	v_lshl_add_u32 v155, v146, 4, 0
	s_load_dwordx2 s[2:3], s[2:3], 0x0
	s_waitcnt lgkmcnt(0)
	s_barrier
	buffer_gl0_inv
	ds_read_b128 v[0:3], v155 offset:6400
	ds_read_b128 v[8:11], v155
	ds_read_b128 v[4:7], v155 offset:2000
	ds_read_b128 v[12:15], v155 offset:8400
	;; [unrolled: 1-line block ×18, first 2 shown]
	s_mov_b32 s0, 0x134454ff
	s_mov_b32 s1, 0x3fee6f0e
	;; [unrolled: 1-line block ×3, first 2 shown]
	s_waitcnt lgkmcnt(18)
	v_add_f64 v[80:81], v[8:9], v[0:1]
	v_add_f64 v[82:83], v[10:11], v[2:3]
	s_waitcnt lgkmcnt(16)
	v_add_f64 v[84:85], v[4:5], v[12:13]
	v_add_f64 v[86:87], v[6:7], v[14:15]
	;; [unrolled: 3-line block ×3, first 2 shown]
	s_waitcnt lgkmcnt(12)
	v_add_f64 v[92:93], v[28:29], v[24:25]
	v_add_f64 v[94:95], v[30:31], -v[26:27]
	v_add_f64 v[96:97], v[0:1], -v[28:29]
	;; [unrolled: 1-line block ×3, first 2 shown]
	v_add_f64 v[100:101], v[30:31], v[26:27]
	v_add_f64 v[102:103], v[28:29], -v[24:25]
	v_add_f64 v[104:105], v[2:3], -v[30:31]
	;; [unrolled: 1-line block ×3, first 2 shown]
	s_waitcnt lgkmcnt(6)
	v_add_f64 v[108:109], v[48:49], v[52:53]
	v_add_f64 v[114:115], v[0:1], v[40:41]
	v_add_f64 v[116:117], v[0:1], -v[40:41]
	v_add_f64 v[110:111], v[50:51], v[54:55]
	v_add_f64 v[112:113], v[2:3], -v[42:43]
	;; [unrolled: 2-line block ×3, first 2 shown]
	v_add_f64 v[120:121], v[32:33], v[36:37]
	v_add_f64 v[0:1], v[80:81], v[28:29]
	;; [unrolled: 1-line block ×5, first 2 shown]
	s_waitcnt lgkmcnt(5)
	v_add_f64 v[82:83], v[88:89], v[56:57]
	v_add_f64 v[84:85], v[90:91], v[58:59]
	v_add_f64 v[86:87], v[40:41], -v[24:25]
	v_add_f64 v[88:89], v[24:25], -v[40:41]
	v_add_f64 v[90:91], v[42:43], -v[26:27]
	v_add_f64 v[124:125], v[12:13], -v[32:33]
	v_add_f64 v[126:127], v[32:33], -v[12:13]
	v_add_f64 v[130:131], v[32:33], -v[36:37]
	v_add_f64 v[122:123], v[34:35], -v[38:39]
	v_add_f64 v[128:129], v[34:35], v[38:39]
	s_waitcnt lgkmcnt(4)
	v_add_f64 v[32:33], v[108:109], v[60:61]
	v_add_f64 v[132:133], v[34:35], -v[14:15]
	v_add_f64 v[136:137], v[44:45], -v[36:37]
	v_add_f64 v[108:109], v[110:111], v[62:63]
	v_add_f64 v[110:111], v[14:15], -v[34:35]
	v_add_f64 v[138:139], v[36:37], -v[44:45]
	v_add_f64 v[160:161], v[16:17], -v[56:57]
	v_add_f64 v[162:163], v[56:57], -v[16:17]
	v_add_f64 v[0:1], v[0:1], v[24:25]
	v_add_f64 v[24:25], v[28:29], v[26:27]
	;; [unrolled: 1-line block ×4, first 2 shown]
	s_waitcnt lgkmcnt(3)
	v_add_f64 v[82:83], v[82:83], v[64:65]
	v_add_f64 v[80:81], v[12:13], v[44:45]
	;; [unrolled: 1-line block ×3, first 2 shown]
	v_add_f64 v[12:13], v[12:13], -v[44:45]
	s_mov_b32 s4, s0
	v_add_f64 v[134:135], v[14:15], -v[46:47]
	v_add_f64 v[14:15], v[14:15], v[46:47]
	v_add_f64 v[140:141], v[46:47], -v[38:39]
	v_add_f64 v[142:143], v[38:39], -v[46:47]
	v_add_f64 v[158:159], v[58:59], -v[66:67]
	s_waitcnt lgkmcnt(2)
	v_add_f64 v[164:165], v[32:33], v[68:69]
	v_add_f64 v[166:167], v[58:59], v[66:67]
	v_add_f64 v[168:169], v[18:19], -v[58:59]
	v_add_f64 v[108:109], v[108:109], v[70:71]
	s_mov_b32 s6, 0x4755a5e
	s_mov_b32 s7, 0x3fe2cf23
	s_mov_b32 s15, 0xbfe2cf23
	s_mov_b32 s14, s6
	v_add_f64 v[156:157], v[56:57], v[64:65]
	v_add_f64 v[30:31], v[24:25], v[42:43]
	;; [unrolled: 1-line block ×3, first 2 shown]
	v_fma_f64 v[26:27], v[114:115], -0.5, v[8:9]
	s_waitcnt lgkmcnt(1)
	v_add_f64 v[36:37], v[82:83], v[72:73]
	v_add_f64 v[44:45], v[16:17], v[72:73]
	v_add_f64 v[82:83], v[16:17], -v[72:73]
	v_fma_f64 v[16:17], v[2:3], -0.5, v[10:11]
	v_fma_f64 v[8:9], v[92:93], -0.5, v[8:9]
	v_add_f64 v[34:35], v[34:35], v[46:47]
	v_add_f64 v[24:25], v[58:59], -v[18:19]
	v_add_f64 v[38:39], v[84:85], v[74:75]
	v_add_f64 v[58:59], v[18:19], -v[74:75]
	v_add_f64 v[84:85], v[18:19], v[74:75]
	v_fma_f64 v[10:11], v[100:101], -0.5, v[10:11]
	v_fma_f64 v[42:43], v[128:129], -0.5, v[6:7]
	v_add_f64 v[56:57], v[56:57], -v[64:65]
	v_add_f64 v[28:29], v[0:1], v[40:41]
	v_add_f64 v[114:115], v[72:73], -v[64:65]
	v_add_f64 v[64:65], v[64:65], -v[72:73]
	;; [unrolled: 1-line block ×4, first 2 shown]
	s_waitcnt lgkmcnt(0)
	v_add_f64 v[0:1], v[164:165], v[76:77]
	v_add_f64 v[2:3], v[108:109], v[78:79]
	;; [unrolled: 1-line block ×3, first 2 shown]
	v_fma_f64 v[18:19], v[94:95], s[4:5], v[26:27]
	v_add_f64 v[92:93], v[62:63], -v[70:71]
	v_add_f64 v[100:101], v[52:53], -v[60:61]
	;; [unrolled: 1-line block ×3, first 2 shown]
	v_fma_f64 v[46:47], v[102:103], s[0:1], v[16:17]
	v_fma_f64 v[16:17], v[102:103], s[4:5], v[16:17]
	;; [unrolled: 1-line block ×4, first 2 shown]
	v_add_f64 v[164:165], v[62:63], v[70:71]
	v_add_f64 v[60:61], v[60:61], -v[68:69]
	v_fma_f64 v[40:41], v[120:121], -0.5, v[4:5]
	v_add_f64 v[120:121], v[54:55], -v[62:63]
	v_add_f64 v[62:63], v[62:63], -v[54:55]
	v_fma_f64 v[26:27], v[94:95], s[0:1], v[26:27]
	v_add_f64 v[128:129], v[54:55], -v[78:79]
	v_add_f64 v[170:171], v[52:53], v[76:77]
	v_add_f64 v[174:175], v[52:53], -v[76:77]
	v_fma_f64 v[52:53], v[116:117], s[4:5], v[10:11]
	v_add_f64 v[176:177], v[54:55], v[78:79]
	v_add_f64 v[178:179], v[76:77], -v[68:69]
	v_fma_f64 v[10:11], v[116:117], s[0:1], v[10:11]
	v_add_f64 v[54:55], v[98:99], v[88:89]
	v_fma_f64 v[18:19], v[112:113], s[6:7], v[18:19]
	v_add_f64 v[106:107], v[106:107], v[118:119]
	v_add_f64 v[68:69], v[68:69], -v[76:77]
	v_fma_f64 v[4:5], v[80:81], -0.5, v[4:5]
	v_fma_f64 v[46:47], v[116:117], s[14:15], v[46:47]
	v_fma_f64 v[76:77], v[116:117], s[6:7], v[16:17]
	v_add_f64 v[80:81], v[96:97], v[86:87]
	v_fma_f64 v[86:87], v[94:95], s[6:7], v[172:173]
	v_add_f64 v[96:97], v[78:79], -v[70:71]
	v_add_f64 v[70:71], v[70:71], -v[78:79]
	v_fma_f64 v[78:79], v[94:95], s[14:15], v[8:9]
	v_fma_f64 v[6:7], v[14:15], -0.5, v[6:7]
	v_fma_f64 v[98:99], v[12:13], s[4:5], v[42:43]
	s_mov_b32 s8, 0x372fe950
	s_mov_b32 s9, 0x3fd3c6ef
	v_fma_f64 v[88:89], v[134:135], s[0:1], v[40:41]
	v_fma_f64 v[26:27], v[112:113], s[14:15], v[26:27]
	v_add_f64 v[90:91], v[104:105], v[90:91]
	v_fma_f64 v[52:53], v[102:103], s[14:15], v[52:53]
	v_fma_f64 v[104:105], v[134:135], s[4:5], v[40:41]
	;; [unrolled: 1-line block ×3, first 2 shown]
	v_add_f64 v[102:103], v[110:111], v[140:141]
	v_fma_f64 v[8:9], v[54:55], s[8:9], v[18:19]
	v_fma_f64 v[110:111], v[12:13], s[0:1], v[42:43]
	v_fma_f64 v[74:75], v[74:75], -0.5, v[48:49]
	v_fma_f64 v[48:49], v[170:171], -0.5, v[48:49]
	v_fma_f64 v[10:11], v[106:107], s[8:9], v[46:47]
	v_fma_f64 v[18:19], v[106:107], s[8:9], v[76:77]
	v_fma_f64 v[76:77], v[156:157], -0.5, v[20:21]
	v_fma_f64 v[106:107], v[166:167], -0.5, v[22:23]
	v_fma_f64 v[40:41], v[80:81], s[8:9], v[86:87]
	v_fma_f64 v[20:21], v[44:45], -0.5, v[20:21]
	v_fma_f64 v[44:45], v[80:81], s[8:9], v[78:79]
	v_fma_f64 v[22:23], v[84:85], -0.5, v[22:23]
	v_fma_f64 v[78:79], v[130:131], s[0:1], v[6:7]
	v_fma_f64 v[6:7], v[130:131], s[4:5], v[6:7]
	v_fma_f64 v[80:81], v[164:165], -0.5, v[50:51]
	v_fma_f64 v[50:51], v[176:177], -0.5, v[50:51]
	v_fma_f64 v[98:99], v[130:131], s[14:15], v[98:99]
	v_add_f64 v[14:15], v[124:125], v[136:137]
	v_fma_f64 v[88:89], v[122:123], s[6:7], v[88:89]
	v_fma_f64 v[16:17], v[54:55], s[8:9], v[26:27]
	;; [unrolled: 1-line block ×28, first 2 shown]
	v_add_f64 v[88:89], v[126:127], v[138:139]
	v_fma_f64 v[26:27], v[134:135], s[6:7], v[26:27]
	v_fma_f64 v[4:5], v[134:135], s[14:15], v[4:5]
	v_add_f64 v[106:107], v[132:133], v[142:143]
	v_add_f64 v[114:115], v[160:161], v[114:115]
	;; [unrolled: 1-line block ×3, first 2 shown]
	v_fma_f64 v[90:91], v[158:159], s[6:7], v[90:91]
	v_fma_f64 v[94:95], v[56:57], s[14:15], v[94:95]
	;; [unrolled: 1-line block ×3, first 2 shown]
	v_add_f64 v[122:123], v[162:163], v[64:65]
	v_fma_f64 v[20:21], v[58:59], s[14:15], v[20:21]
	v_add_f64 v[24:25], v[24:25], v[66:67]
	v_fma_f64 v[110:111], v[82:83], s[14:15], v[110:111]
	v_fma_f64 v[22:23], v[82:83], s[6:7], v[22:23]
	v_add_f64 v[82:83], v[100:101], v[178:179]
	v_add_f64 v[96:97], v[120:121], v[96:97]
	v_fma_f64 v[12:13], v[92:93], s[6:7], v[12:13]
	v_fma_f64 v[100:101], v[60:61], s[14:15], v[112:113]
	;; [unrolled: 1-line block ×4, first 2 shown]
	v_add_f64 v[108:109], v[108:109], v[68:69]
	v_fma_f64 v[112:113], v[128:129], s[6:7], v[116:117]
	v_add_f64 v[116:117], v[62:63], v[70:71]
	v_fma_f64 v[118:119], v[174:175], s[14:15], v[118:119]
	v_fma_f64 v[120:121], v[128:129], s[14:15], v[48:49]
	;; [unrolled: 1-line block ×27, first 2 shown]
	v_lshl_add_u32 v136, v146, 6, v155
	v_mad_i32_i24 v147, 0x50, v150, 0
	v_mad_i32_i24 v151, 0x50, v153, 0
	v_cmp_gt_u32_e64 s0, 25, v146
	s_barrier
	buffer_gl0_inv
	ds_write_b128 v136, v[28:31]
	ds_write_b128 v136, v[40:43] offset:16
	ds_write_b128 v136, v[8:11] offset:32
	ds_write_b128 v136, v[16:19] offset:48
	ds_write_b128 v136, v[44:47] offset:64
	ds_write_b128 v147, v[32:35]
	ds_write_b128 v147, v[52:55] offset:16
	ds_write_b128 v147, v[56:59] offset:32
	ds_write_b128 v147, v[60:63] offset:48
	ds_write_b128 v147, v[48:51] offset:64
	;; [unrolled: 5-line block ×3, first 2 shown]
	s_and_saveexec_b32 s1, s0
	s_cbranch_execz .LBB0_15
; %bb.14:
	v_mad_i32_i24 v8, 0x50, v152, 0
	ds_write_b128 v8, v[0:3]
	ds_write_b128 v8, v[4:7] offset:16
	ds_write_b128 v8, v[12:15] offset:32
	;; [unrolled: 1-line block ×4, first 2 shown]
.LBB0_15:
	s_or_b32 exec_lo, exec_lo, s1
	v_lshlrev_b32_e32 v158, 6, v150
	v_lshlrev_b32_e32 v168, 6, v153
	s_waitcnt lgkmcnt(0)
	s_barrier
	buffer_gl0_inv
	v_sub_nc_u32_e32 v16, v147, v158
	v_sub_nc_u32_e32 v8, v151, v168
	ds_read_b128 v[28:31], v155
	ds_read_b128 v[76:79], v155 offset:6400
	ds_read_b128 v[72:75], v155 offset:12800
	;; [unrolled: 1-line block ×5, first 2 shown]
	ds_read_b128 v[8:11], v8
	ds_read_b128 v[60:63], v155 offset:8400
	ds_read_b128 v[36:39], v155 offset:10400
	;; [unrolled: 1-line block ×6, first 2 shown]
	ds_read_b128 v[16:19], v16
	ds_read_b128 v[48:51], v155 offset:29600
	v_lshl_add_u32 v156, v152, 4, 0
	s_and_saveexec_b32 s1, s0
	s_cbranch_execz .LBB0_17
; %bb.16:
	ds_read_b128 v[0:3], v156
	ds_read_b128 v[4:7], v155 offset:12400
	ds_read_b128 v[12:15], v155 offset:18800
	;; [unrolled: 1-line block ×4, first 2 shown]
.LBB0_17:
	s_or_b32 exec_lo, exec_lo, s1
	v_and_b32_e32 v154, 0xff, v146
	v_and_b32_e32 v157, 0xff, v150
	v_mov_b32_e32 v92, 6
	v_mov_b32_e32 v94, 0xcccd
	v_sub_nc_u32_e32 v159, 0, v158
	v_mul_lo_u16 v80, 0xcd, v154
	v_sub_nc_u32_e32 v158, 0, v168
	s_mov_b32 s8, 0x134454ff
	v_mul_u32_u24_sdwa v85, v153, v94 dst_sel:DWORD dst_unused:UNUSED_PAD src0_sel:WORD_0 src1_sel:DWORD
	v_mul_u32_u24_sdwa v94, v152, v94 dst_sel:DWORD dst_unused:UNUSED_PAD src0_sel:WORD_0 src1_sel:DWORD
	v_lshrrev_b16 v163, 10, v80
	s_mov_b32 s9, 0x3fee6f0e
	s_mov_b32 s17, 0xbfee6f0e
	v_lshrrev_b32_e32 v167, 18, v85
	v_lshrrev_b32_e32 v160, 18, v94
	v_mul_lo_u16 v80, v163, 5
	s_mov_b32 s16, s8
	s_mov_b32 s14, s6
	v_mul_lo_u16 v96, v167, 5
	v_mul_u32_u24_e32 v190, 0x190, v167
	v_sub_nc_u16 v162, v146, v80
	v_mul_lo_u16 v80, 0xcd, v157
	s_mov_b32 s4, 0x372fe950
	v_sub_nc_u16 v166, v153, v96
	s_mov_b32 s5, 0x3fd3c6ef
	v_lshlrev_b32_sdwa v93, v92, v162 dst_sel:DWORD dst_unused:UNUSED_PAD src0_sel:DWORD src1_sel:BYTE_0
	v_lshrrev_b16 v165, 10, v80
	v_lshlrev_b32_sdwa v94, v92, v166 dst_sel:DWORD dst_unused:UNUSED_PAD src0_sel:DWORD src1_sel:WORD_0
	s_clause 0x1
	global_load_dwordx4 v[80:83], v93, s[12:13]
	global_load_dwordx4 v[88:91], v93, s[12:13] offset:16
	v_mul_lo_u16 v84, v165, 5
	global_load_dwordx4 v[140:143], v93, s[12:13] offset:48
	v_sub_nc_u16 v164, v150, v84
	global_load_dwordx4 v[84:87], v93, s[12:13] offset:32
	v_mul_lo_u16 v93, v160, 5
	v_lshlrev_b32_sdwa v95, v92, v164 dst_sel:DWORD dst_unused:UNUSED_PAD src0_sel:DWORD src1_sel:BYTE_0
	v_sub_nc_u16 v161, v152, v93
	s_clause 0x6
	global_load_dwordx4 v[120:123], v95, s[12:13]
	global_load_dwordx4 v[112:115], v95, s[12:13] offset:16
	global_load_dwordx4 v[108:111], v95, s[12:13] offset:32
	global_load_dwordx4 v[104:107], v95, s[12:13] offset:48
	global_load_dwordx4 v[100:103], v94, s[12:13]
	global_load_dwordx4 v[116:119], v94, s[12:13] offset:16
	global_load_dwordx4 v[96:99], v94, s[12:13] offset:32
	v_lshlrev_b32_sdwa v124, v92, v161 dst_sel:DWORD dst_unused:UNUSED_PAD src0_sel:DWORD src1_sel:WORD_0
	s_clause 0x4
	global_load_dwordx4 v[92:95], v94, s[12:13] offset:48
	global_load_dwordx4 v[136:139], v124, s[12:13]
	global_load_dwordx4 v[132:135], v124, s[12:13] offset:16
	global_load_dwordx4 v[128:131], v124, s[12:13] offset:32
	;; [unrolled: 1-line block ×3, first 2 shown]
	s_waitcnt vmcnt(0) lgkmcnt(0)
	s_barrier
	buffer_gl0_inv
	v_mul_f64 v[168:169], v[78:79], v[82:83]
	v_mul_f64 v[170:171], v[76:77], v[82:83]
	;; [unrolled: 1-line block ×4, first 2 shown]
	v_mov_b32_e32 v83, 0x190
	v_mov_b32_e32 v82, 4
	v_mul_f64 v[174:175], v[70:71], v[86:87]
	v_mul_f64 v[86:87], v[68:69], v[86:87]
	v_mul_u32_u24_sdwa v188, v163, v83 dst_sel:DWORD dst_unused:UNUSED_PAD src0_sel:WORD_0 src1_sel:DWORD
	v_mul_u32_u24_sdwa v189, v165, v83 dst_sel:DWORD dst_unused:UNUSED_PAD src0_sel:WORD_0 src1_sel:DWORD
	v_lshlrev_b32_sdwa v191, v82, v162 dst_sel:DWORD dst_unused:UNUSED_PAD src0_sel:DWORD src1_sel:BYTE_0
	v_mul_f64 v[162:163], v[66:67], v[142:143]
	v_mul_f64 v[142:143], v[64:65], v[142:143]
	v_lshlrev_b32_sdwa v192, v82, v164 dst_sel:DWORD dst_unused:UNUSED_PAD src0_sel:DWORD src1_sel:BYTE_0
	v_lshlrev_b32_sdwa v193, v82, v166 dst_sel:DWORD dst_unused:UNUSED_PAD src0_sel:DWORD src1_sel:WORD_0
	v_mul_f64 v[176:177], v[62:63], v[122:123]
	v_mul_f64 v[122:123], v[60:61], v[122:123]
	v_mul_f64 v[178:179], v[54:55], v[114:115]
	v_fma_f64 v[76:77], v[76:77], v[80:81], -v[168:169]
	v_fma_f64 v[78:79], v[78:79], v[80:81], v[170:171]
	v_mul_f64 v[80:81], v[52:53], v[114:115]
	v_mul_f64 v[114:115], v[58:59], v[110:111]
	v_mul_f64 v[110:111], v[56:57], v[110:111]
	v_mul_f64 v[167:168], v[34:35], v[106:107]
	v_fma_f64 v[72:73], v[72:73], v[88:89], -v[172:173]
	v_fma_f64 v[74:75], v[74:75], v[88:89], v[90:91]
	v_mul_f64 v[88:89], v[32:33], v[106:107]
	;; [unrolled: 6-line block ×3, first 2 shown]
	v_mul_f64 v[85:86], v[46:47], v[98:99]
	v_mul_f64 v[98:99], v[44:45], v[98:99]
	;; [unrolled: 1-line block ×4, first 2 shown]
	v_fma_f64 v[64:65], v[64:65], v[140:141], -v[162:163]
	v_fma_f64 v[66:67], v[66:67], v[140:141], v[142:143]
	v_mul_f64 v[140:141], v[6:7], v[138:139]
	v_mul_f64 v[138:139], v[4:5], v[138:139]
	;; [unrolled: 1-line block ×3, first 2 shown]
	v_fma_f64 v[60:61], v[60:61], v[120:121], -v[176:177]
	v_fma_f64 v[62:63], v[62:63], v[120:121], v[122:123]
	v_mul_f64 v[120:121], v[12:13], v[134:135]
	v_mul_f64 v[122:123], v[22:23], v[130:131]
	v_mul_f64 v[130:131], v[20:21], v[130:131]
	v_mul_f64 v[134:135], v[26:27], v[126:127]
	v_fma_f64 v[52:53], v[52:53], v[112:113], -v[178:179]
	v_fma_f64 v[54:55], v[54:55], v[112:113], v[80:81]
	v_mul_f64 v[80:81], v[24:25], v[126:127]
	v_fma_f64 v[56:57], v[56:57], v[108:109], -v[114:115]
	v_fma_f64 v[58:59], v[58:59], v[108:109], v[110:111]
	v_fma_f64 v[32:33], v[32:33], v[104:105], -v[167:168]
	v_fma_f64 v[34:35], v[34:35], v[104:105], v[88:89]
	;; [unrolled: 2-line block ×9, first 2 shown]
	v_fma_f64 v[83:84], v[24:25], v[124:125], -v[134:135]
	v_add_f64 v[24:25], v[28:29], v[76:77]
	v_add_f64 v[85:86], v[78:79], -v[66:67]
	v_fma_f64 v[80:81], v[26:27], v[124:125], v[80:81]
	v_add_f64 v[26:27], v[72:73], v[68:69]
	v_add_f64 v[89:90], v[76:77], -v[72:73]
	v_add_f64 v[91:92], v[64:65], -v[68:69]
	v_add_f64 v[93:94], v[76:77], v[64:65]
	v_add_f64 v[99:100], v[30:31], v[78:79]
	;; [unrolled: 1-line block ×3, first 2 shown]
	v_add_f64 v[105:106], v[78:79], -v[74:75]
	v_add_f64 v[107:108], v[66:67], -v[70:71]
	v_add_f64 v[109:110], v[78:79], v[66:67]
	v_add_f64 v[78:79], v[74:75], -v[78:79]
	v_add_f64 v[111:112], v[70:71], -v[66:67]
	v_add_f64 v[115:116], v[52:53], v[56:57]
	v_add_f64 v[125:126], v[60:61], v[32:33]
	v_add_f64 v[127:128], v[52:53], -v[60:61]
	v_add_f64 v[129:130], v[56:57], -v[32:33]
	v_add_f64 v[133:134], v[54:55], v[58:59]
	v_add_f64 v[137:138], v[62:63], v[34:35]
	;; [unrolled: 1-line block ×6, first 2 shown]
	v_add_f64 v[95:96], v[72:73], -v[76:77]
	v_add_f64 v[97:98], v[68:69], -v[64:65]
	;; [unrolled: 1-line block ×3, first 2 shown]
	v_add_f64 v[113:114], v[16:17], v[60:61]
	v_add_f64 v[117:118], v[62:63], -v[34:35]
	v_add_f64 v[121:122], v[60:61], -v[52:53]
	;; [unrolled: 1-line block ×3, first 2 shown]
	v_add_f64 v[131:132], v[18:19], v[62:63]
	v_add_f64 v[139:140], v[62:63], -v[54:55]
	v_add_f64 v[141:142], v[34:35], -v[58:59]
	;; [unrolled: 1-line block ×4, first 2 shown]
	v_add_f64 v[172:173], v[8:9], v[36:37]
	v_add_f64 v[174:175], v[36:37], -v[40:41]
	v_add_f64 v[176:177], v[48:49], -v[44:45]
	;; [unrolled: 1-line block ×4, first 2 shown]
	v_add_f64 v[182:183], v[10:11], v[38:39]
	v_fma_f64 v[26:27], v[26:27], -0.5, v[28:29]
	v_fma_f64 v[28:29], v[93:94], -0.5, v[28:29]
	;; [unrolled: 1-line block ×4, first 2 shown]
	v_add_f64 v[109:110], v[42:43], -v[38:39]
	v_fma_f64 v[115:116], v[115:116], -0.5, v[16:17]
	v_fma_f64 v[16:17], v[125:126], -0.5, v[16:17]
	;; [unrolled: 1-line block ×4, first 2 shown]
	v_add_f64 v[133:134], v[46:47], -v[50:51]
	v_add_f64 v[137:138], v[0:1], v[4:5]
	v_fma_f64 v[162:163], v[162:163], -0.5, v[8:9]
	v_fma_f64 v[8:9], v[164:165], -0.5, v[8:9]
	;; [unrolled: 1-line block ×4, first 2 shown]
	v_add_f64 v[166:167], v[12:13], v[20:21]
	v_add_f64 v[168:169], v[4:5], -v[12:13]
	v_add_f64 v[24:25], v[24:25], v[72:73]
	v_add_f64 v[72:73], v[83:84], -v[20:21]
	v_add_f64 v[89:90], v[89:90], v[91:92]
	v_add_f64 v[91:92], v[4:5], v[83:84]
	;; [unrolled: 1-line block ×8, first 2 shown]
	v_add_f64 v[87:88], v[74:75], -v[70:71]
	v_add_f64 v[76:77], v[76:77], -v[64:65]
	;; [unrolled: 1-line block ×7, first 2 shown]
	v_add_f64 v[95:96], v[95:96], v[97:98]
	v_add_f64 v[97:98], v[12:13], -v[4:5]
	v_add_f64 v[74:75], v[99:100], v[74:75]
	v_add_f64 v[99:100], v[20:21], -v[83:84]
	;; [unrolled: 2-line block ×6, first 2 shown]
	v_add_f64 v[38:39], v[38:39], -v[50:51]
	v_add_f64 v[62:63], v[62:63], v[170:171]
	v_add_f64 v[170:171], v[42:43], -v[46:47]
	v_add_f64 v[36:37], v[36:37], -v[48:49]
	v_add_f64 v[174:175], v[174:175], v[176:177]
	v_add_f64 v[176:177], v[40:41], -v[44:45]
	;; [unrolled: 3-line block ×4, first 2 shown]
	v_add_f64 v[40:41], v[172:173], v[40:41]
	v_add_f64 v[109:110], v[109:110], v[133:134]
	;; [unrolled: 1-line block ×3, first 2 shown]
	v_fma_f64 v[133:134], v[166:167], -0.5, v[0:1]
	v_add_f64 v[137:138], v[168:169], v[72:73]
	v_fma_f64 v[0:1], v[91:92], -0.5, v[0:1]
	v_add_f64 v[14:15], v[107:108], v[14:15]
	v_fma_f64 v[72:73], v[111:112], -0.5, v[2:3]
	v_fma_f64 v[2:3], v[129:130], -0.5, v[2:3]
	v_add_f64 v[101:102], v[184:185], v[101:102]
	v_add_f64 v[91:92], v[97:98], v[99:100]
	;; [unrolled: 1-line block ×5, first 2 shown]
	v_fma_f64 v[68:69], v[85:86], s[8:9], v[26:27]
	v_fma_f64 v[26:27], v[85:86], s[16:17], v[26:27]
	v_add_f64 v[70:71], v[74:75], v[70:71]
	v_fma_f64 v[74:75], v[76:77], s[16:17], v[93:94]
	v_fma_f64 v[93:94], v[76:77], s[8:9], v[93:94]
	v_fma_f64 v[111:112], v[103:104], s[8:9], v[30:31]
	v_fma_f64 v[30:31], v[103:104], s[16:17], v[30:31]
	v_add_f64 v[52:53], v[52:53], v[56:57]
	v_fma_f64 v[56:57], v[117:118], s[8:9], v[115:116]
	v_fma_f64 v[113:114], v[117:118], s[16:17], v[115:116]
	;; [unrolled: 5-line block ×7, first 2 shown]
	v_fma_f64 v[184:185], v[182:183], s[8:9], v[2:3]
	v_fma_f64 v[186:187], v[182:183], s[16:17], v[2:3]
	;; [unrolled: 1-line block ×4, first 2 shown]
	v_add_f64 v[20:21], v[24:25], v[64:65]
	v_fma_f64 v[64:65], v[87:88], s[6:7], v[68:69]
	v_fma_f64 v[68:69], v[87:88], s[14:15], v[26:27]
	v_add_f64 v[22:23], v[70:71], v[66:67]
	v_fma_f64 v[66:67], v[103:104], s[14:15], v[74:75]
	v_fma_f64 v[70:71], v[103:104], s[6:7], v[93:94]
	;; [unrolled: 1-line block ×5, first 2 shown]
	v_add_f64 v[26:27], v[54:55], v[34:35]
	v_fma_f64 v[54:55], v[135:136], s[14:15], v[58:59]
	v_fma_f64 v[58:59], v[135:136], s[6:7], v[123:124]
	;; [unrolled: 1-line block ×7, first 2 shown]
	v_add_f64 v[0:1], v[12:13], v[83:84]
	v_fma_f64 v[12:13], v[180:181], s[6:7], v[164:165]
	v_fma_f64 v[83:84], v[180:181], s[14:15], v[133:134]
	;; [unrolled: 1-line block ×4, first 2 shown]
	v_add_f64 v[2:3], v[14:15], v[80:81]
	v_fma_f64 v[14:15], v[182:183], s[14:15], v[172:173]
	v_fma_f64 v[80:81], v[182:183], s[6:7], v[72:73]
	v_fma_f64 v[125:126], v[4:5], s[14:15], v[184:185]
	v_fma_f64 v[129:130], v[4:5], s[6:7], v[186:187]
	v_fma_f64 v[87:88], v[85:86], s[6:7], v[107:108]
	v_fma_f64 v[85:86], v[85:86], s[14:15], v[28:29]
	v_add_f64 v[24:25], v[52:53], v[32:33]
	v_fma_f64 v[52:53], v[119:120], s[6:7], v[56:57]
	v_fma_f64 v[56:57], v[119:120], s[14:15], v[113:114]
	;; [unrolled: 1-line block ×8, first 2 shown]
	v_add_f64 v[30:31], v[42:43], v[50:51]
	v_fma_f64 v[42:43], v[78:79], s[4:5], v[74:75]
	v_fma_f64 v[46:47], v[78:79], s[4:5], v[76:77]
	;; [unrolled: 1-line block ×19, first 2 shown]
	v_add_f64 v[28:29], v[40:41], v[48:49]
	v_fma_f64 v[40:41], v[95:96], s[4:5], v[87:88]
	v_fma_f64 v[44:45], v[95:96], s[4:5], v[85:86]
	;; [unrolled: 1-line block ×13, first 2 shown]
	v_add3_u32 v80, 0, v188, v191
	v_add3_u32 v81, 0, v189, v192
	;; [unrolled: 1-line block ×3, first 2 shown]
	ds_write_b128 v80, v[20:23]
	ds_write_b128 v80, v[32:35] offset:80
	ds_write_b128 v80, v[40:43] offset:160
	ds_write_b128 v80, v[44:47] offset:240
	ds_write_b128 v80, v[36:39] offset:320
	ds_write_b128 v81, v[24:27]
	ds_write_b128 v81, v[48:51] offset:80
	ds_write_b128 v81, v[56:59] offset:160
	ds_write_b128 v81, v[60:63] offset:240
	ds_write_b128 v81, v[52:55] offset:320
	;; [unrolled: 5-line block ×3, first 2 shown]
	s_and_saveexec_b32 s1, s0
	s_cbranch_execz .LBB0_19
; %bb.18:
	v_mul_lo_u16 v20, v160, 25
	v_lshlrev_b32_sdwa v21, v82, v161 dst_sel:DWORD dst_unused:UNUSED_PAD src0_sel:DWORD src1_sel:WORD_0
	v_lshlrev_b32_sdwa v20, v82, v20 dst_sel:DWORD dst_unused:UNUSED_PAD src0_sel:DWORD src1_sel:WORD_0
	v_add3_u32 v20, 0, v21, v20
	ds_write_b128 v20, v[0:3]
	ds_write_b128 v20, v[4:7] offset:80
	ds_write_b128 v20, v[8:11] offset:160
	;; [unrolled: 1-line block ×4, first 2 shown]
.LBB0_19:
	s_or_b32 exec_lo, exec_lo, s1
	v_add_nc_u32_e32 v80, v151, v158
	s_waitcnt lgkmcnt(0)
	s_barrier
	buffer_gl0_inv
	ds_read_b128 v[24:27], v155
	ds_read_b128 v[52:55], v155 offset:6400
	v_add_nc_u32_e32 v81, v147, v159
	ds_read_b128 v[72:75], v155 offset:12800
	ds_read_b128 v[56:59], v155 offset:14800
	;; [unrolled: 1-line block ×4, first 2 shown]
	ds_read_b128 v[20:23], v80
	ds_read_b128 v[64:67], v155 offset:8400
	ds_read_b128 v[32:35], v155 offset:10400
	;; [unrolled: 1-line block ×6, first 2 shown]
	ds_read_b128 v[28:31], v81
	ds_read_b128 v[44:47], v155 offset:29600
	s_and_saveexec_b32 s1, s0
	s_cbranch_execz .LBB0_21
; %bb.20:
	ds_read_b128 v[0:3], v156
	ds_read_b128 v[4:7], v155 offset:12400
	ds_read_b128 v[8:11], v155 offset:18800
	;; [unrolled: 1-line block ×4, first 2 shown]
.LBB0_21:
	s_or_b32 exec_lo, exec_lo, s1
	v_mul_lo_u16 v82, v154, 41
	v_mul_lo_u16 v83, v157, 41
	v_mov_b32_e32 v117, 6
	s_mov_b32 s16, s8
	s_mov_b32 s14, s6
	v_lshrrev_b16 v143, 10, v82
	v_mov_b32_e32 v82, 0x47af
	v_lshrrev_b16 v147, 10, v83
	v_mov_b32_e32 v187, 0x7d0
	v_mov_b32_e32 v188, 4
	v_mul_lo_u16 v84, v143, 25
	v_mul_u32_u24_sdwa v83, v153, v82 dst_sel:DWORD dst_unused:UNUSED_PAD src0_sel:WORD_0 src1_sel:DWORD
	v_mul_u32_u24_sdwa v143, v143, v187 dst_sel:DWORD dst_unused:UNUSED_PAD src0_sel:WORD_0 src1_sel:DWORD
	v_sub_nc_u16 v151, v146, v84
	v_mul_lo_u16 v84, v147, 25
	v_lshrrev_b32_e32 v83, 16, v83
	v_mul_u32_u24_sdwa v147, v147, v187 dst_sel:DWORD dst_unused:UNUSED_PAD src0_sel:WORD_0 src1_sel:DWORD
	v_lshlrev_b32_sdwa v97, v117, v151 dst_sel:DWORD dst_unused:UNUSED_PAD src0_sel:DWORD src1_sel:BYTE_0
	v_sub_nc_u16 v154, v150, v84
	v_sub_nc_u16 v84, v153, v83
	v_lshlrev_b32_sdwa v151, v188, v151 dst_sel:DWORD dst_unused:UNUSED_PAD src0_sel:DWORD src1_sel:BYTE_0
	s_clause 0x1
	global_load_dwordx4 v[85:88], v97, s[12:13] offset:320
	global_load_dwordx4 v[89:92], v97, s[12:13] offset:336
	v_lshlrev_b32_sdwa v113, v117, v154 dst_sel:DWORD dst_unused:UNUSED_PAD src0_sel:DWORD src1_sel:BYTE_0
	v_lshrrev_b16 v84, 1, v84
	s_clause 0x1
	global_load_dwordx4 v[93:96], v97, s[12:13] offset:352
	global_load_dwordx4 v[97:100], v97, s[12:13] offset:368
	v_lshlrev_b32_sdwa v154, v188, v154 dst_sel:DWORD dst_unused:UNUSED_PAD src0_sel:DWORD src1_sel:BYTE_0
	s_clause 0x2
	global_load_dwordx4 v[101:104], v113, s[12:13] offset:320
	global_load_dwordx4 v[105:108], v113, s[12:13] offset:336
	;; [unrolled: 1-line block ×3, first 2 shown]
	v_add_nc_u16 v83, v84, v83
	global_load_dwordx4 v[113:116], v113, s[12:13] offset:368
	v_add3_u32 v143, 0, v143, v151
	v_lshrrev_b16 v83, 4, v83
	v_mul_lo_u16 v84, v83, 25
	v_mul_u32_u24_sdwa v83, v83, v187 dst_sel:DWORD dst_unused:UNUSED_PAD src0_sel:WORD_0 src1_sel:DWORD
	v_sub_nc_u16 v84, v153, v84
	v_lshlrev_b32_sdwa v129, v117, v84 dst_sel:DWORD dst_unused:UNUSED_PAD src0_sel:DWORD src1_sel:WORD_0
	v_lshlrev_b32_sdwa v84, v188, v84 dst_sel:DWORD dst_unused:UNUSED_PAD src0_sel:DWORD src1_sel:WORD_0
	s_clause 0x3
	global_load_dwordx4 v[117:120], v129, s[12:13] offset:320
	global_load_dwordx4 v[121:124], v129, s[12:13] offset:336
	;; [unrolled: 1-line block ×4, first 2 shown]
	s_waitcnt vmcnt(0) lgkmcnt(0)
	s_barrier
	buffer_gl0_inv
	v_add3_u32 v83, 0, v83, v84
	v_mul_f64 v[133:134], v[54:55], v[87:88]
	v_mul_f64 v[87:88], v[52:53], v[87:88]
	;; [unrolled: 1-line block ×16, first 2 shown]
	v_fma_f64 v[52:53], v[52:53], v[85:86], -v[133:134]
	v_fma_f64 v[54:55], v[54:55], v[85:86], v[87:88]
	v_fma_f64 v[72:73], v[72:73], v[89:90], -v[135:136]
	v_fma_f64 v[74:75], v[74:75], v[89:90], v[91:92]
	;; [unrolled: 2-line block ×3, first 2 shown]
	v_fma_f64 v[78:79], v[78:79], v[93:94], v[95:96]
	v_fma_f64 v[60:61], v[60:61], v[97:98], -v[99:100]
	v_fma_f64 v[64:65], v[64:65], v[101:102], -v[141:142]
	v_mul_f64 v[85:86], v[34:35], v[119:120]
	v_mul_f64 v[89:90], v[38:39], v[123:124]
	;; [unrolled: 1-line block ×8, first 2 shown]
	v_fma_f64 v[56:57], v[56:57], v[105:106], -v[157:158]
	v_fma_f64 v[68:69], v[68:69], v[109:110], -v[159:160]
	v_fma_f64 v[66:67], v[66:67], v[101:102], v[103:104]
	v_fma_f64 v[58:59], v[58:59], v[105:106], v[107:108]
	;; [unrolled: 1-line block ×3, first 2 shown]
	v_fma_f64 v[48:49], v[48:49], v[113:114], -v[161:162]
	v_fma_f64 v[50:51], v[50:51], v[113:114], v[115:116]
	v_add_f64 v[101:102], v[24:25], v[52:53]
	v_add_f64 v[109:110], v[52:53], -v[72:73]
	v_add_f64 v[103:104], v[72:73], v[76:77]
	v_add_f64 v[115:116], v[72:73], -v[52:53]
	;; [unrolled: 2-line block ×4, first 2 shown]
	v_add_f64 v[127:128], v[74:75], v[78:79]
	v_add_f64 v[141:142], v[28:29], v[64:65]
	v_fma_f64 v[32:33], v[32:33], v[117:118], -v[85:86]
	v_fma_f64 v[36:37], v[36:37], v[121:122], -v[89:90]
	v_fma_f64 v[38:39], v[38:39], v[121:122], v[91:92]
	v_fma_f64 v[40:41], v[40:41], v[125:126], -v[93:94]
	v_fma_f64 v[42:43], v[42:43], v[125:126], v[95:96]
	v_fma_f64 v[85:86], v[44:45], v[129:130], -v[97:98]
	v_add_f64 v[105:106], v[54:55], -v[62:63]
	v_add_f64 v[133:134], v[54:55], -v[74:75]
	v_add_f64 v[137:138], v[54:55], v[62:63]
	v_add_f64 v[54:55], v[74:75], -v[54:55]
	v_add_f64 v[139:140], v[78:79], -v[62:63]
	v_fma_f64 v[34:35], v[34:35], v[117:118], v[87:88]
	v_fma_f64 v[87:88], v[46:47], v[129:130], v[99:100]
	v_add_f64 v[157:158], v[56:57], v[68:69]
	v_add_f64 v[173:174], v[30:31], v[66:67]
	;; [unrolled: 1-line block ×5, first 2 shown]
	v_add_f64 v[107:108], v[74:75], -v[78:79]
	v_add_f64 v[52:53], v[52:53], -v[60:61]
	;; [unrolled: 1-line block ×7, first 2 shown]
	v_add_f64 v[44:45], v[101:102], v[72:73]
	v_fma_f64 v[46:47], v[103:104], -0.5, v[24:25]
	v_add_f64 v[72:73], v[109:110], v[111:112]
	v_fma_f64 v[24:25], v[113:114], -0.5, v[24:25]
	v_add_f64 v[89:90], v[115:116], v[119:120]
	v_add_f64 v[74:75], v[123:124], v[74:75]
	v_fma_f64 v[91:92], v[127:128], -0.5, v[26:27]
	v_add_f64 v[56:57], v[141:142], v[56:57]
	v_add_f64 v[111:112], v[36:37], v[40:41]
	v_add_f64 v[117:118], v[32:33], -v[36:37]
	v_add_f64 v[119:120], v[85:86], -v[40:41]
	v_add_f64 v[129:130], v[38:39], v[42:43]
	v_add_f64 v[54:55], v[54:55], v[139:140]
	;; [unrolled: 1-line block ×5, first 2 shown]
	v_add_f64 v[159:160], v[66:67], -v[50:51]
	v_fma_f64 v[95:96], v[157:158], -0.5, v[28:29]
	v_add_f64 v[165:166], v[48:49], -v[68:69]
	v_fma_f64 v[26:27], v[137:138], -0.5, v[26:27]
	v_add_f64 v[161:162], v[58:59], -v[70:71]
	v_add_f64 v[64:65], v[64:65], -v[48:49]
	;; [unrolled: 1-line block ×4, first 2 shown]
	v_add_f64 v[58:59], v[173:174], v[58:59]
	v_fma_f64 v[101:102], v[175:176], -0.5, v[30:31]
	v_fma_f64 v[28:29], v[167:168], -0.5, v[28:29]
	;; [unrolled: 1-line block ×3, first 2 shown]
	v_add_f64 v[127:128], v[22:23], v[34:35]
	v_add_f64 v[93:94], v[133:134], v[135:136]
	v_add_f64 v[113:114], v[34:35], -v[87:88]
	v_add_f64 v[123:124], v[36:37], -v[32:33]
	;; [unrolled: 1-line block ×8, first 2 shown]
	v_add_f64 v[44:45], v[44:45], v[76:77]
	v_fma_f64 v[76:77], v[105:106], s[8:9], v[46:47]
	v_fma_f64 v[46:47], v[105:106], s[16:17], v[46:47]
	;; [unrolled: 1-line block ×4, first 2 shown]
	v_add_f64 v[74:75], v[74:75], v[78:79]
	v_fma_f64 v[78:79], v[52:53], s[16:17], v[91:92]
	v_fma_f64 v[91:92], v[52:53], s[8:9], v[91:92]
	v_add_f64 v[56:57], v[56:57], v[68:69]
	v_fma_f64 v[111:112], v[111:112], -0.5, v[20:21]
	v_add_f64 v[117:118], v[117:118], v[119:120]
	v_fma_f64 v[119:120], v[129:130], -0.5, v[22:23]
	v_add_f64 v[115:116], v[38:39], -v[42:43]
	v_add_f64 v[135:136], v[36:37], -v[40:41]
	v_add_f64 v[36:37], v[109:110], v[36:37]
	v_fma_f64 v[109:110], v[121:122], -0.5, v[20:21]
	v_fma_f64 v[121:122], v[139:140], -0.5, v[22:23]
	v_add_f64 v[171:172], v[68:69], -v[48:49]
	v_fma_f64 v[68:69], v[159:160], s[8:9], v[95:96]
	v_add_f64 v[97:98], v[163:164], v[165:166]
	v_fma_f64 v[163:164], v[131:132], s[8:9], v[26:27]
	v_fma_f64 v[26:27], v[131:132], s[16:17], v[26:27]
	v_add_f64 v[181:182], v[50:51], -v[70:71]
	v_add_f64 v[185:186], v[70:71], -v[50:51]
	v_add_f64 v[58:59], v[58:59], v[70:71]
	v_fma_f64 v[70:71], v[64:65], s[16:17], v[101:102]
	v_fma_f64 v[165:166], v[161:162], s[16:17], v[28:29]
	;; [unrolled: 1-line block ×7, first 2 shown]
	v_add_f64 v[38:39], v[127:128], v[38:39]
	v_add_f64 v[123:124], v[123:124], v[125:126]
	v_add_f64 v[125:126], v[32:33], v[137:138]
	v_add_f64 v[127:128], v[34:35], v[141:142]
	v_add_f64 v[20:21], v[44:45], v[60:61]
	v_fma_f64 v[32:33], v[107:108], s[6:7], v[76:77]
	v_fma_f64 v[34:35], v[107:108], s[14:15], v[46:47]
	;; [unrolled: 1-line block ×4, first 2 shown]
	v_add_f64 v[22:23], v[74:75], v[62:63]
	v_fma_f64 v[62:63], v[131:132], s[6:7], v[91:92]
	v_add_f64 v[24:25], v[56:57], v[48:49]
	v_fma_f64 v[56:57], v[113:114], s[8:9], v[111:112]
	v_fma_f64 v[91:92], v[133:134], s[16:17], v[119:120]
	;; [unrolled: 1-line block ×12, first 2 shown]
	v_add_f64 v[103:104], v[179:180], v[181:182]
	v_add_f64 v[26:27], v[58:59], v[50:51]
	v_fma_f64 v[50:51], v[177:178], s[14:15], v[70:71]
	v_add_f64 v[99:100], v[169:170], v[171:172]
	v_add_f64 v[66:67], v[66:67], v[185:186]
	v_fma_f64 v[111:112], v[159:160], s[6:7], v[165:166]
	v_fma_f64 v[70:71], v[64:65], s[14:15], v[167:168]
	;; [unrolled: 1-line block ×6, first 2 shown]
	v_add_f64 v[101:102], v[36:37], v[40:41]
	v_add_f64 v[121:122], v[38:39], v[42:43]
	v_fma_f64 v[28:29], v[72:73], s[4:5], v[32:33]
	v_fma_f64 v[32:33], v[72:73], s[4:5], v[34:35]
	;; [unrolled: 1-line block ×24, first 2 shown]
	v_add_f64 v[60:61], v[101:102], v[85:86]
	v_add_f64 v[62:63], v[121:122], v[87:88]
	v_fma_f64 v[64:65], v[117:118], s[4:5], v[72:73]
	v_fma_f64 v[66:67], v[125:126], s[4:5], v[89:90]
	v_fma_f64 v[72:73], v[123:124], s[4:5], v[76:77]
	v_fma_f64 v[74:75], v[127:128], s[4:5], v[91:92]
	v_fma_f64 v[76:77], v[123:124], s[4:5], v[78:79]
	v_fma_f64 v[78:79], v[127:128], s[4:5], v[105:106]
	v_fma_f64 v[68:69], v[117:118], s[4:5], v[68:69]
	v_fma_f64 v[70:71], v[125:126], s[4:5], v[107:108]
	v_add3_u32 v85, 0, v147, v154
	ds_write_b128 v143, v[20:23]
	ds_write_b128 v143, v[28:31] offset:400
	ds_write_b128 v143, v[36:39] offset:800
	ds_write_b128 v143, v[40:43] offset:1200
	ds_write_b128 v143, v[32:35] offset:1600
	ds_write_b128 v85, v[24:27]
	ds_write_b128 v85, v[44:47] offset:400
	ds_write_b128 v85, v[52:55] offset:800
	ds_write_b128 v85, v[56:59] offset:1200
	ds_write_b128 v85, v[48:51] offset:1600
	;; [unrolled: 5-line block ×3, first 2 shown]
	s_and_saveexec_b32 s1, s0
	s_cbranch_execz .LBB0_23
; %bb.22:
	v_mul_u32_u24_sdwa v20, v152, v82 dst_sel:DWORD dst_unused:UNUSED_PAD src0_sel:WORD_0 src1_sel:DWORD
	v_lshrrev_b32_e32 v20, 16, v20
	v_sub_nc_u16 v21, v152, v20
	v_lshrrev_b16 v21, 1, v21
	v_add_nc_u16 v20, v21, v20
	v_lshrrev_b16 v20, 4, v20
	v_mul_lo_u16 v20, v20, 25
	v_sub_nc_u16 v20, v152, v20
	v_and_b32_e32 v52, 0xffff, v20
	v_lshlrev_b32_e32 v32, 6, v52
	s_clause 0x3
	global_load_dwordx4 v[20:23], v32, s[12:13] offset:336
	global_load_dwordx4 v[24:27], v32, s[12:13] offset:320
	;; [unrolled: 1-line block ×4, first 2 shown]
	s_waitcnt vmcnt(3)
	v_mul_f64 v[36:37], v[8:9], v[22:23]
	s_waitcnt vmcnt(2)
	v_mul_f64 v[38:39], v[4:5], v[26:27]
	;; [unrolled: 2-line block ×4, first 2 shown]
	v_mul_f64 v[22:23], v[10:11], v[22:23]
	v_mul_f64 v[34:35], v[14:15], v[34:35]
	v_mul_f64 v[26:27], v[6:7], v[26:27]
	v_mul_f64 v[30:31], v[18:19], v[30:31]
	v_fma_f64 v[10:11], v[10:11], v[20:21], v[36:37]
	v_fma_f64 v[6:7], v[6:7], v[24:25], v[38:39]
	v_fma_f64 v[18:19], v[18:19], v[28:29], v[40:41]
	v_fma_f64 v[14:15], v[14:15], v[32:33], v[42:43]
	v_fma_f64 v[8:9], v[8:9], v[20:21], -v[22:23]
	v_fma_f64 v[12:13], v[12:13], v[32:33], -v[34:35]
	v_fma_f64 v[4:5], v[4:5], v[24:25], -v[26:27]
	v_fma_f64 v[16:17], v[16:17], v[28:29], -v[30:31]
	v_add_f64 v[32:33], v[2:3], v[6:7]
	v_add_f64 v[20:21], v[6:7], v[18:19]
	;; [unrolled: 1-line block ×3, first 2 shown]
	v_add_f64 v[36:37], v[10:11], -v[14:15]
	v_add_f64 v[24:25], v[8:9], v[12:13]
	v_add_f64 v[34:35], v[0:1], v[4:5]
	;; [unrolled: 1-line block ×3, first 2 shown]
	v_add_f64 v[28:29], v[4:5], -v[16:17]
	v_add_f64 v[30:31], v[8:9], -v[12:13]
	;; [unrolled: 1-line block ×8, first 2 shown]
	v_fma_f64 v[20:21], v[20:21], -0.5, v[2:3]
	v_fma_f64 v[2:3], v[22:23], -0.5, v[2:3]
	v_add_f64 v[22:23], v[6:7], -v[18:19]
	v_fma_f64 v[24:25], v[24:25], -0.5, v[0:1]
	v_add_f64 v[8:9], v[34:35], v[8:9]
	v_fma_f64 v[0:1], v[26:27], -0.5, v[0:1]
	v_add_f64 v[26:27], v[10:11], -v[6:7]
	v_add_f64 v[6:7], v[6:7], -v[10:11]
	v_add_f64 v[10:11], v[32:33], v[10:11]
	v_fma_f64 v[32:33], v[30:31], s[16:17], v[20:21]
	v_fma_f64 v[20:21], v[30:31], s[8:9], v[20:21]
	v_fma_f64 v[34:35], v[28:29], s[8:9], v[2:3]
	v_fma_f64 v[2:3], v[28:29], s[16:17], v[2:3]
	v_fma_f64 v[48:49], v[22:23], s[8:9], v[24:25]
	v_fma_f64 v[50:51], v[36:37], s[16:17], v[0:1]
	v_fma_f64 v[0:1], v[36:37], s[8:9], v[0:1]
	v_fma_f64 v[24:25], v[22:23], s[16:17], v[24:25]
	v_add_f64 v[26:27], v[26:27], v[38:39]
	v_add_f64 v[38:39], v[6:7], v[40:41]
	;; [unrolled: 1-line block ×6, first 2 shown]
	v_fma_f64 v[8:9], v[28:29], s[6:7], v[32:33]
	v_fma_f64 v[10:11], v[28:29], s[14:15], v[20:21]
	;; [unrolled: 1-line block ×8, first 2 shown]
	v_add_f64 v[2:3], v[4:5], v[18:19]
	v_add_f64 v[0:1], v[6:7], v[16:17]
	v_fma_f64 v[6:7], v[26:27], s[4:5], v[8:9]
	v_fma_f64 v[10:11], v[26:27], s[4:5], v[10:11]
	;; [unrolled: 1-line block ×8, first 2 shown]
	v_lshl_add_u32 v20, v52, 4, 0
	ds_write_b128 v20, v[0:3] offset:30000
	ds_write_b128 v20, v[16:19] offset:30400
	;; [unrolled: 1-line block ×5, first 2 shown]
.LBB0_23:
	s_or_b32 exec_lo, exec_lo, s1
	v_mul_u32_u24_e32 v0, 15, v146
	s_waitcnt lgkmcnt(0)
	s_barrier
	buffer_gl0_inv
	s_mov_b32 s5, 0x3fe6a09e
	v_lshlrev_b32_e32 v28, 4, v0
	s_mov_b32 s6, 0xcf328d46
	s_mov_b32 s7, 0xbfed906b
	;; [unrolled: 1-line block ×4, first 2 shown]
	v_add_co_u32 v44, s0, s12, v28
	v_add_co_ci_u32_e64 v45, null, s13, 0, s0
	s_clause 0x1
	global_load_dwordx4 v[0:3], v28, s[12:13] offset:1936
	global_load_dwordx4 v[4:7], v28, s[12:13] offset:1920
	v_add_co_u32 v48, s0, 0x800, v44
	v_add_co_ci_u32_e64 v49, s0, 0, v45, s0
	v_add_co_u32 v56, s0, 0x840, v44
	v_add_co_ci_u32_e64 v57, s0, 0, v45, s0
	s_clause 0xc
	global_load_dwordx4 v[8:11], v28, s[12:13] offset:1968
	global_load_dwordx4 v[12:15], v28, s[12:13] offset:1952
	global_load_dwordx4 v[16:19], v28, s[12:13] offset:2000
	global_load_dwordx4 v[20:23], v28, s[12:13] offset:1984
	global_load_dwordx4 v[24:27], v28, s[12:13] offset:2016
	global_load_dwordx4 v[28:31], v28, s[12:13] offset:2032
	global_load_dwordx4 v[32:35], v[48:49], off offset:32
	global_load_dwordx4 v[36:39], v[48:49], off
	global_load_dwordx4 v[40:43], v[48:49], off offset:16
	global_load_dwordx4 v[44:47], v[48:49], off offset:48
	;; [unrolled: 1-line block ×5, first 2 shown]
	ds_read_b128 v[60:63], v81
	ds_read_b128 v[64:67], v80
	;; [unrolled: 1-line block ×3, first 2 shown]
	ds_read_b128 v[72:75], v155 offset:8000
	ds_read_b128 v[76:79], v155 offset:10000
	ds_read_b128 v[82:85], v155
	ds_read_b128 v[86:89], v155 offset:12000
	ds_read_b128 v[90:93], v155 offset:14000
	;; [unrolled: 1-line block ×10, first 2 shown]
	s_mov_b32 s0, 0x667f3bcd
	s_mov_b32 s1, 0xbfe6a09e
	;; [unrolled: 1-line block ×7, first 2 shown]
	s_waitcnt vmcnt(0) lgkmcnt(0)
	s_barrier
	buffer_gl0_inv
	v_mov_b32_e32 v147, 0
	v_mul_f64 v[128:129], v[66:67], v[2:3]
	v_mul_f64 v[126:127], v[62:63], v[6:7]
	;; [unrolled: 1-line block ×30, first 2 shown]
	v_fma_f64 v[60:61], v[60:61], v[4:5], -v[126:127]
	v_fma_f64 v[4:5], v[62:63], v[4:5], v[6:7]
	v_fma_f64 v[6:7], v[64:65], v[0:1], -v[128:129]
	v_fma_f64 v[0:1], v[66:67], v[0:1], v[2:3]
	;; [unrolled: 2-line block ×14, first 2 shown]
	v_fma_f64 v[34:35], v[124:125], v[56:57], v[58:59]
	v_fma_f64 v[56:57], v[122:123], v[56:57], -v[167:168]
	v_add_f64 v[26:27], v[82:83], -v[26:27]
	v_add_f64 v[28:29], v[84:85], -v[28:29]
	;; [unrolled: 1-line block ×16, first 2 shown]
	v_fma_f64 v[58:59], v[82:83], 2.0, -v[26:27]
	v_fma_f64 v[62:63], v[84:85], 2.0, -v[28:29]
	;; [unrolled: 1-line block ×3, first 2 shown]
	v_add_f64 v[64:65], v[26:27], -v[44:45]
	v_add_f64 v[30:31], v[28:29], v[30:31]
	v_fma_f64 v[8:9], v[8:9], 2.0, -v[44:45]
	v_add_f64 v[68:69], v[40:41], v[42:43]
	v_add_f64 v[66:67], v[46:47], -v[52:53]
	v_fma_f64 v[6:7], v[6:7], 2.0, -v[46:47]
	v_fma_f64 v[0:1], v[0:1], 2.0, -v[40:41]
	v_add_f64 v[72:73], v[36:37], v[38:39]
	v_add_f64 v[70:71], v[54:55], -v[48:49]
	v_fma_f64 v[22:23], v[22:23], 2.0, -v[42:43]
	v_fma_f64 v[16:17], v[16:17], 2.0, -v[52:53]
	v_add_f64 v[74:75], v[50:51], -v[34:35]
	v_add_f64 v[76:77], v[32:33], v[56:57]
	v_fma_f64 v[42:43], v[60:61], 2.0, -v[54:55]
	v_fma_f64 v[4:5], v[4:5], 2.0, -v[36:37]
	v_fma_f64 v[10:11], v[10:11], 2.0, -v[38:39]
	v_fma_f64 v[20:21], v[20:21], 2.0, -v[48:49]
	v_fma_f64 v[2:3], v[2:3], 2.0, -v[50:51]
	v_fma_f64 v[12:13], v[12:13], 2.0, -v[32:33]
	v_fma_f64 v[18:19], v[18:19], 2.0, -v[56:57]
	v_fma_f64 v[24:25], v[24:25], 2.0, -v[34:35]
	v_add_f64 v[14:15], v[58:59], -v[14:15]
	v_fma_f64 v[26:27], v[26:27], 2.0, -v[64:65]
	v_fma_f64 v[28:29], v[28:29], 2.0, -v[30:31]
	v_add_f64 v[8:9], v[62:63], -v[8:9]
	v_fma_f64 v[38:39], v[40:41], 2.0, -v[68:69]
	v_fma_f64 v[34:35], v[46:47], 2.0, -v[66:67]
	v_fma_f64 v[48:49], v[68:69], s[4:5], v[30:31]
	v_fma_f64 v[46:47], v[66:67], s[4:5], v[64:65]
	v_fma_f64 v[36:37], v[36:37], 2.0, -v[72:73]
	v_fma_f64 v[40:41], v[54:55], 2.0, -v[70:71]
	v_add_f64 v[22:23], v[6:7], -v[22:23]
	v_add_f64 v[16:17], v[0:1], -v[16:17]
	v_fma_f64 v[44:45], v[50:51], 2.0, -v[74:75]
	v_fma_f64 v[32:33], v[32:33], 2.0, -v[76:77]
	v_fma_f64 v[50:51], v[74:75], s[4:5], v[70:71]
	v_fma_f64 v[52:53], v[76:77], s[4:5], v[72:73]
	v_add_f64 v[10:11], v[42:43], -v[10:11]
	v_add_f64 v[20:21], v[4:5], -v[20:21]
	;; [unrolled: 1-line block ×4, first 2 shown]
	v_fma_f64 v[58:59], v[58:59], 2.0, -v[14:15]
	v_fma_f64 v[62:63], v[62:63], 2.0, -v[8:9]
	v_fma_f64 v[56:57], v[38:39], s[0:1], v[28:29]
	v_fma_f64 v[54:55], v[34:35], s[0:1], v[26:27]
	;; [unrolled: 1-line block ×4, first 2 shown]
	v_fma_f64 v[6:7], v[6:7], 2.0, -v[22:23]
	v_fma_f64 v[0:1], v[0:1], 2.0, -v[16:17]
	v_fma_f64 v[60:61], v[44:45], s[0:1], v[40:41]
	v_fma_f64 v[78:79], v[32:33], s[0:1], v[36:37]
	v_add_f64 v[82:83], v[14:15], -v[16:17]
	v_add_f64 v[84:85], v[8:9], v[22:23]
	v_fma_f64 v[42:43], v[42:43], 2.0, -v[10:11]
	v_fma_f64 v[4:5], v[4:5], 2.0, -v[20:21]
	v_fma_f64 v[22:23], v[76:77], s[0:1], v[50:51]
	v_fma_f64 v[2:3], v[2:3], 2.0, -v[18:19]
	v_fma_f64 v[12:13], v[12:13], 2.0, -v[24:25]
	v_add_f64 v[16:17], v[10:11], -v[24:25]
	v_add_f64 v[18:19], v[20:21], v[18:19]
	v_fma_f64 v[24:25], v[74:75], s[4:5], v[52:53]
	v_fma_f64 v[68:69], v[34:35], s[4:5], v[56:57]
	;; [unrolled: 1-line block ×3, first 2 shown]
	v_fma_f64 v[56:57], v[30:31], 2.0, -v[48:49]
	v_fma_f64 v[54:55], v[64:65], 2.0, -v[46:47]
	v_add_f64 v[38:39], v[58:59], -v[6:7]
	v_fma_f64 v[32:33], v[32:33], s[0:1], v[60:61]
	v_fma_f64 v[34:35], v[44:45], s[4:5], v[78:79]
	v_add_f64 v[44:45], v[62:63], -v[0:1]
	v_fma_f64 v[50:51], v[14:15], 2.0, -v[82:83]
	v_fma_f64 v[52:53], v[8:9], 2.0, -v[84:85]
	;; [unrolled: 1-line block ×3, first 2 shown]
	v_add_f64 v[2:3], v[42:43], -v[2:3]
	v_add_f64 v[0:1], v[4:5], -v[12:13]
	v_fma_f64 v[30:31], v[10:11], 2.0, -v[16:17]
	v_fma_f64 v[20:21], v[20:21], 2.0, -v[18:19]
	;; [unrolled: 1-line block ×3, first 2 shown]
	v_fma_f64 v[6:7], v[16:17], s[4:5], v[82:83]
	v_fma_f64 v[72:73], v[28:29], 2.0, -v[68:69]
	v_fma_f64 v[70:71], v[26:27], 2.0, -v[66:67]
	v_fma_f64 v[8:9], v[18:19], s[4:5], v[84:85]
	v_fma_f64 v[10:11], v[22:23], s[16:17], v[46:47]
	;; [unrolled: 1-line block ×3, first 2 shown]
	v_fma_f64 v[58:59], v[58:59], 2.0, -v[38:39]
	v_fma_f64 v[40:41], v[40:41], 2.0, -v[32:33]
	;; [unrolled: 1-line block ×4, first 2 shown]
	v_fma_f64 v[78:79], v[32:33], s[14:15], v[66:67]
	v_fma_f64 v[86:87], v[34:35], s[14:15], v[68:69]
	;; [unrolled: 1-line block ×3, first 2 shown]
	v_fma_f64 v[14:15], v[42:43], 2.0, -v[2:3]
	v_fma_f64 v[26:27], v[4:5], 2.0, -v[0:1]
	v_fma_f64 v[36:37], v[30:31], s[0:1], v[50:51]
	v_fma_f64 v[42:43], v[20:21], s[0:1], v[52:53]
	v_fma_f64 v[76:77], v[64:65], s[8:9], v[56:57]
	v_add_f64 v[0:1], v[38:39], -v[0:1]
	v_add_f64 v[2:3], v[44:45], v[2:3]
	v_fma_f64 v[4:5], v[18:19], s[0:1], v[6:7]
	v_fma_f64 v[6:7], v[16:17], s[4:5], v[8:9]
	;; [unrolled: 1-line block ×7, first 2 shown]
	v_add_f64 v[12:13], v[58:59], -v[14:15]
	v_add_f64 v[14:15], v[62:63], -v[26:27]
	v_fma_f64 v[16:17], v[20:21], s[0:1], v[36:37]
	v_fma_f64 v[18:19], v[30:31], s[4:5], v[42:43]
	;; [unrolled: 1-line block ×5, first 2 shown]
	v_fma_f64 v[32:33], v[38:39], 2.0, -v[0:1]
	v_fma_f64 v[34:35], v[44:45], 2.0, -v[2:3]
	;; [unrolled: 1-line block ×5, first 2 shown]
	s_add_u32 s1, s12, 0x7cb0
	s_addc_u32 s4, s13, 0
	v_fma_f64 v[28:29], v[28:29], s[8:9], v[88:89]
	v_fma_f64 v[30:31], v[40:41], s[14:15], v[90:91]
	v_fma_f64 v[40:41], v[46:47], 2.0, -v[8:9]
	s_mov_b32 s5, exec_lo
	v_fma_f64 v[44:45], v[58:59], 2.0, -v[12:13]
	v_fma_f64 v[46:47], v[62:63], 2.0, -v[14:15]
	;; [unrolled: 1-line block ×10, first 2 shown]
	ds_write_b128 v155, v[0:3] offset:24000
	ds_write_b128 v155, v[4:7] offset:28000
	;; [unrolled: 1-line block ×10, first 2 shown]
	ds_write_b128 v155, v[44:47]
	ds_write_b128 v155, v[48:51] offset:4000
	ds_write_b128 v155, v[52:55] offset:6000
	;; [unrolled: 1-line block ×5, first 2 shown]
	s_waitcnt lgkmcnt(0)
	s_barrier
	buffer_gl0_inv
	ds_read_b128 v[4:7], v155
	v_lshlrev_b32_e32 v0, 4, v146
                                        ; implicit-def: $vgpr8_vgpr9
                                        ; implicit-def: $vgpr10_vgpr11
	v_sub_nc_u32_e32 v12, 0, v0
                                        ; implicit-def: $vgpr0_vgpr1
	v_cmpx_ne_u32_e32 0, v146
	s_xor_b32 s5, exec_lo, s5
	s_cbranch_execz .LBB0_25
; %bb.24:
	v_lshlrev_b64 v[0:1], 4, v[146:147]
	v_add_co_u32 v0, s0, s1, v0
	v_add_co_ci_u32_e64 v1, s0, s4, v1, s0
	global_load_dwordx4 v[13:16], v[0:1], off
	ds_read_b128 v[0:3], v12 offset:32000
	s_waitcnt lgkmcnt(0)
	v_add_f64 v[8:9], v[4:5], -v[0:1]
	v_add_f64 v[10:11], v[6:7], v[2:3]
	v_add_f64 v[2:3], v[6:7], -v[2:3]
	v_add_f64 v[0:1], v[4:5], v[0:1]
	v_mul_f64 v[6:7], v[8:9], 0.5
	v_mul_f64 v[4:5], v[10:11], 0.5
	;; [unrolled: 1-line block ×3, first 2 shown]
	s_waitcnt vmcnt(0)
	v_mul_f64 v[8:9], v[6:7], v[15:16]
	v_fma_f64 v[10:11], v[4:5], v[15:16], v[2:3]
	v_fma_f64 v[2:3], v[4:5], v[15:16], -v[2:3]
	v_fma_f64 v[17:18], v[0:1], 0.5, v[8:9]
	v_fma_f64 v[0:1], v[0:1], 0.5, -v[8:9]
	v_fma_f64 v[10:11], -v[13:14], v[6:7], v[10:11]
	v_fma_f64 v[2:3], -v[13:14], v[6:7], v[2:3]
	v_fma_f64 v[8:9], v[4:5], v[13:14], v[17:18]
	v_fma_f64 v[0:1], -v[4:5], v[13:14], v[0:1]
                                        ; implicit-def: $vgpr4_vgpr5
.LBB0_25:
	s_andn2_saveexec_b32 s0, s5
	s_cbranch_execz .LBB0_27
; %bb.26:
	v_mov_b32_e32 v15, 0
	s_waitcnt lgkmcnt(0)
	v_add_f64 v[8:9], v[4:5], v[6:7]
	v_add_f64 v[0:1], v[4:5], -v[6:7]
	v_mov_b32_e32 v10, 0
	v_mov_b32_e32 v11, 0
	ds_read_b64 v[13:14], v15 offset:16008
	v_mov_b32_e32 v2, v10
	v_mov_b32_e32 v3, v11
	s_waitcnt lgkmcnt(0)
	v_xor_b32_e32 v14, 0x80000000, v14
	ds_write_b64 v15, v[13:14] offset:16008
.LBB0_27:
	s_or_b32 exec_lo, exec_lo, s0
	v_mov_b32_e32 v151, 0
	ds_write2_b64 v155, v[8:9], v[10:11] offset1:1
	ds_write_b128 v12, v[0:3] offset:32000
	s_waitcnt lgkmcnt(2)
	v_lshlrev_b64 v[4:5], 4, v[150:151]
	v_mov_b32_e32 v154, v151
	v_add_nc_u32_e32 v150, 0x1f4, v146
	v_lshlrev_b64 v[13:14], 4, v[153:154]
	v_add_co_u32 v4, s0, s1, v4
	v_add_co_ci_u32_e64 v5, s0, s4, v5, s0
	v_mov_b32_e32 v153, v151
	v_add_co_u32 v13, s0, s1, v13
	global_load_dwordx4 v[4:7], v[4:5], off
	v_add_co_ci_u32_e64 v14, s0, s4, v14, s0
	v_lshlrev_b64 v[17:18], 4, v[152:153]
	global_load_dwordx4 v[13:16], v[13:14], off
	ds_read_b128 v[0:3], v81
	ds_read_b128 v[8:11], v12 offset:30000
	v_add_co_u32 v17, s0, s1, v17
	v_add_co_ci_u32_e64 v18, s0, s4, v18, s0
	global_load_dwordx4 v[17:20], v[17:18], off
	s_waitcnt lgkmcnt(0)
	v_add_f64 v[21:22], v[0:1], -v[8:9]
	v_add_f64 v[23:24], v[2:3], v[10:11]
	v_add_f64 v[2:3], v[2:3], -v[10:11]
	v_add_f64 v[0:1], v[0:1], v[8:9]
	v_mul_f64 v[10:11], v[21:22], 0.5
	v_mul_f64 v[21:22], v[23:24], 0.5
	;; [unrolled: 1-line block ×3, first 2 shown]
	s_waitcnt vmcnt(2)
	v_mul_f64 v[8:9], v[10:11], v[6:7]
	v_fma_f64 v[23:24], v[21:22], v[6:7], v[2:3]
	v_fma_f64 v[2:3], v[21:22], v[6:7], -v[2:3]
	v_fma_f64 v[6:7], v[0:1], 0.5, v[8:9]
	v_fma_f64 v[0:1], v[0:1], 0.5, -v[8:9]
	v_fma_f64 v[8:9], -v[4:5], v[10:11], v[23:24]
	v_fma_f64 v[2:3], -v[4:5], v[10:11], v[2:3]
	v_lshlrev_b64 v[10:11], 4, v[150:151]
	v_add_nc_u32_e32 v150, 0x271, v146
	v_fma_f64 v[6:7], v[21:22], v[4:5], v[6:7]
	v_fma_f64 v[0:1], -v[21:22], v[4:5], v[0:1]
	ds_write_b64 v81, v[8:9] offset:8
	ds_write_b64 v12, v[2:3] offset:30008
	ds_write_b64 v81, v[6:7]
	ds_write_b64 v12, v[0:1] offset:30000
	v_add_co_u32 v8, s0, s1, v10
	v_add_co_ci_u32_e64 v9, s0, s4, v11, s0
	ds_read_b128 v[0:3], v80
	ds_read_b128 v[4:7], v12 offset:28000
	global_load_dwordx4 v[8:11], v[8:9], off
	s_waitcnt lgkmcnt(0)
	v_add_f64 v[21:22], v[0:1], -v[4:5]
	v_add_f64 v[23:24], v[2:3], v[6:7]
	v_add_f64 v[2:3], v[2:3], -v[6:7]
	v_add_f64 v[0:1], v[0:1], v[4:5]
	v_mul_f64 v[6:7], v[21:22], 0.5
	v_mul_f64 v[21:22], v[23:24], 0.5
	;; [unrolled: 1-line block ×3, first 2 shown]
	s_waitcnt vmcnt(2)
	v_mul_f64 v[4:5], v[6:7], v[15:16]
	v_fma_f64 v[23:24], v[21:22], v[15:16], v[2:3]
	v_fma_f64 v[2:3], v[21:22], v[15:16], -v[2:3]
	v_fma_f64 v[15:16], v[0:1], 0.5, v[4:5]
	v_fma_f64 v[0:1], v[0:1], 0.5, -v[4:5]
	v_fma_f64 v[4:5], -v[13:14], v[6:7], v[23:24]
	v_fma_f64 v[2:3], -v[13:14], v[6:7], v[2:3]
	v_fma_f64 v[6:7], v[21:22], v[13:14], v[15:16]
	v_fma_f64 v[0:1], -v[21:22], v[13:14], v[0:1]
	v_lshlrev_b64 v[13:14], 4, v[150:151]
	v_add_nc_u32_e32 v150, 0x2ee, v146
	ds_write_b64 v80, v[4:5] offset:8
	ds_write_b64 v12, v[2:3] offset:28008
	ds_write_b64 v80, v[6:7]
	ds_write_b64 v12, v[0:1] offset:28000
	v_add_co_u32 v13, s0, s1, v13
	ds_read_b128 v[0:3], v156
	ds_read_b128 v[4:7], v12 offset:26000
	v_add_co_ci_u32_e64 v14, s0, s4, v14, s0
	global_load_dwordx4 v[13:16], v[13:14], off
	s_waitcnt lgkmcnt(0)
	v_add_f64 v[21:22], v[0:1], -v[4:5]
	v_add_f64 v[23:24], v[2:3], v[6:7]
	v_add_f64 v[2:3], v[2:3], -v[6:7]
	v_add_f64 v[0:1], v[0:1], v[4:5]
	v_mul_f64 v[6:7], v[21:22], 0.5
	v_mul_f64 v[21:22], v[23:24], 0.5
	v_mul_f64 v[2:3], v[2:3], 0.5
	s_waitcnt vmcnt(2)
	v_mul_f64 v[4:5], v[6:7], v[19:20]
	v_fma_f64 v[23:24], v[21:22], v[19:20], v[2:3]
	v_fma_f64 v[2:3], v[21:22], v[19:20], -v[2:3]
	v_fma_f64 v[19:20], v[0:1], 0.5, v[4:5]
	v_fma_f64 v[0:1], v[0:1], 0.5, -v[4:5]
	v_fma_f64 v[4:5], -v[17:18], v[6:7], v[23:24]
	v_fma_f64 v[2:3], -v[17:18], v[6:7], v[2:3]
	v_fma_f64 v[6:7], v[21:22], v[17:18], v[19:20]
	v_fma_f64 v[0:1], -v[21:22], v[17:18], v[0:1]
	v_lshlrev_b64 v[17:18], 4, v[150:151]
	v_add_nc_u32_e32 v150, 0x36b, v146
	ds_write2_b64 v156, v[6:7], v[4:5] offset1:1
	ds_write_b128 v12, v[0:3] offset:26000
	v_add_co_u32 v17, s0, s1, v17
	ds_read_b128 v[0:3], v155 offset:8000
	ds_read_b128 v[4:7], v12 offset:24000
	v_add_co_ci_u32_e64 v18, s0, s4, v18, s0
	global_load_dwordx4 v[17:20], v[17:18], off
	s_waitcnt lgkmcnt(0)
	v_add_f64 v[21:22], v[0:1], -v[4:5]
	v_add_f64 v[23:24], v[2:3], v[6:7]
	v_add_f64 v[2:3], v[2:3], -v[6:7]
	v_add_f64 v[0:1], v[0:1], v[4:5]
	v_mul_f64 v[6:7], v[21:22], 0.5
	v_mul_f64 v[21:22], v[23:24], 0.5
	;; [unrolled: 1-line block ×3, first 2 shown]
	s_waitcnt vmcnt(2)
	v_mul_f64 v[4:5], v[6:7], v[10:11]
	v_fma_f64 v[23:24], v[21:22], v[10:11], v[2:3]
	v_fma_f64 v[2:3], v[21:22], v[10:11], -v[2:3]
	v_fma_f64 v[10:11], v[0:1], 0.5, v[4:5]
	v_fma_f64 v[0:1], v[0:1], 0.5, -v[4:5]
	v_fma_f64 v[4:5], -v[8:9], v[6:7], v[23:24]
	v_fma_f64 v[2:3], -v[8:9], v[6:7], v[2:3]
	v_fma_f64 v[6:7], v[21:22], v[8:9], v[10:11]
	v_fma_f64 v[0:1], -v[21:22], v[8:9], v[0:1]
	v_lshlrev_b64 v[8:9], 4, v[150:151]
	v_add_nc_u32_e32 v10, 0x1800, v155
	ds_write2_b64 v10, v[6:7], v[4:5] offset0:232 offset1:233
	ds_write_b128 v12, v[0:3] offset:24000
	v_add_co_u32 v8, s0, s1, v8
	ds_read_b128 v[0:3], v155 offset:10000
	ds_read_b128 v[4:7], v12 offset:22000
	v_add_co_ci_u32_e64 v9, s0, s4, v9, s0
	global_load_dwordx4 v[8:11], v[8:9], off
	s_waitcnt lgkmcnt(0)
	v_add_f64 v[21:22], v[0:1], -v[4:5]
	v_add_f64 v[23:24], v[2:3], v[6:7]
	v_add_f64 v[2:3], v[2:3], -v[6:7]
	v_add_f64 v[0:1], v[0:1], v[4:5]
	v_mul_f64 v[6:7], v[21:22], 0.5
	v_mul_f64 v[21:22], v[23:24], 0.5
	;; [unrolled: 1-line block ×3, first 2 shown]
	s_waitcnt vmcnt(2)
	v_mul_f64 v[4:5], v[6:7], v[15:16]
	v_fma_f64 v[23:24], v[21:22], v[15:16], v[2:3]
	v_fma_f64 v[2:3], v[21:22], v[15:16], -v[2:3]
	v_fma_f64 v[15:16], v[0:1], 0.5, v[4:5]
	v_fma_f64 v[0:1], v[0:1], 0.5, -v[4:5]
	v_fma_f64 v[4:5], -v[13:14], v[6:7], v[23:24]
	v_fma_f64 v[2:3], -v[13:14], v[6:7], v[2:3]
	v_fma_f64 v[6:7], v[21:22], v[13:14], v[15:16]
	v_fma_f64 v[0:1], -v[21:22], v[13:14], v[0:1]
	v_add_nc_u32_e32 v13, 0x2000, v155
	ds_write2_b64 v13, v[6:7], v[4:5] offset0:226 offset1:227
	ds_write_b128 v12, v[0:3] offset:22000
	ds_read_b128 v[0:3], v155 offset:12000
	ds_read_b128 v[4:7], v12 offset:20000
	s_waitcnt lgkmcnt(0)
	v_add_f64 v[13:14], v[0:1], -v[4:5]
	v_add_f64 v[15:16], v[2:3], v[6:7]
	v_add_f64 v[2:3], v[2:3], -v[6:7]
	v_add_f64 v[0:1], v[0:1], v[4:5]
	v_mul_f64 v[6:7], v[13:14], 0.5
	v_mul_f64 v[13:14], v[15:16], 0.5
	;; [unrolled: 1-line block ×3, first 2 shown]
	s_waitcnt vmcnt(1)
	v_mul_f64 v[4:5], v[6:7], v[19:20]
	v_fma_f64 v[15:16], v[13:14], v[19:20], v[2:3]
	v_fma_f64 v[2:3], v[13:14], v[19:20], -v[2:3]
	v_fma_f64 v[19:20], v[0:1], 0.5, v[4:5]
	v_fma_f64 v[0:1], v[0:1], 0.5, -v[4:5]
	v_fma_f64 v[4:5], -v[17:18], v[6:7], v[15:16]
	v_fma_f64 v[2:3], -v[17:18], v[6:7], v[2:3]
	v_fma_f64 v[6:7], v[13:14], v[17:18], v[19:20]
	v_fma_f64 v[0:1], -v[13:14], v[17:18], v[0:1]
	v_add_nc_u32_e32 v13, 0x2800, v155
	ds_write2_b64 v13, v[6:7], v[4:5] offset0:220 offset1:221
	ds_write_b128 v12, v[0:3] offset:20000
	ds_read_b128 v[0:3], v155 offset:14000
	ds_read_b128 v[4:7], v12 offset:18000
	s_waitcnt lgkmcnt(0)
	v_add_f64 v[13:14], v[0:1], -v[4:5]
	v_add_f64 v[15:16], v[2:3], v[6:7]
	v_add_f64 v[2:3], v[2:3], -v[6:7]
	v_add_f64 v[0:1], v[0:1], v[4:5]
	v_mul_f64 v[6:7], v[13:14], 0.5
	v_mul_f64 v[13:14], v[15:16], 0.5
	v_mul_f64 v[2:3], v[2:3], 0.5
	s_waitcnt vmcnt(0)
	v_mul_f64 v[4:5], v[6:7], v[10:11]
	v_fma_f64 v[15:16], v[13:14], v[10:11], v[2:3]
	v_fma_f64 v[2:3], v[13:14], v[10:11], -v[2:3]
	v_fma_f64 v[10:11], v[0:1], 0.5, v[4:5]
	v_fma_f64 v[0:1], v[0:1], 0.5, -v[4:5]
	v_fma_f64 v[4:5], -v[8:9], v[6:7], v[15:16]
	v_fma_f64 v[2:3], -v[8:9], v[6:7], v[2:3]
	v_fma_f64 v[6:7], v[13:14], v[8:9], v[10:11]
	v_fma_f64 v[0:1], -v[13:14], v[8:9], v[0:1]
	v_add_nc_u32_e32 v8, 0x3000, v155
	ds_write2_b64 v8, v[6:7], v[4:5] offset0:214 offset1:215
	ds_write_b128 v12, v[0:3] offset:18000
	s_waitcnt lgkmcnt(0)
	s_barrier
	buffer_gl0_inv
	s_and_saveexec_b32 s0, vcc_lo
	s_cbranch_execz .LBB0_30
; %bb.28:
	v_mul_lo_u32 v2, s3, v148
	v_mul_lo_u32 v3, s2, v149
	v_mad_u64_u32 v[0:1], null, s2, v148, 0
	v_mov_b32_e32 v147, v151
	v_lshlrev_b64 v[10:11], 4, v[144:145]
	v_lshl_add_u32 v28, v146, 4, 0
	v_add_nc_u32_e32 v150, 0x7d, v146
	v_lshlrev_b64 v[12:13], 4, v[146:147]
	v_add3_u32 v1, v1, v3, v2
	ds_read_b128 v[2:5], v28
	ds_read_b128 v[6:9], v28 offset:2000
	v_lshlrev_b64 v[18:19], 4, v[150:151]
	v_add_nc_u32_e32 v150, 0xfa, v146
	v_lshlrev_b64 v[0:1], 4, v[0:1]
	v_lshlrev_b64 v[20:21], 4, v[150:151]
	v_add_nc_u32_e32 v150, 0x177, v146
	v_add_co_u32 v0, vcc_lo, s10, v0
	v_add_co_ci_u32_e32 v1, vcc_lo, s11, v1, vcc_lo
	v_lshlrev_b64 v[24:25], 4, v[150:151]
	v_add_co_u32 v0, vcc_lo, v0, v10
	v_add_co_ci_u32_e32 v1, vcc_lo, v1, v11, vcc_lo
	v_add_nc_u32_e32 v150, 0x1f4, v146
	v_add_co_u32 v22, vcc_lo, v0, v12
	v_add_co_ci_u32_e32 v23, vcc_lo, v1, v13, vcc_lo
	ds_read_b128 v[10:13], v28 offset:4000
	ds_read_b128 v[14:17], v28 offset:6000
	v_add_co_u32 v18, vcc_lo, v0, v18
	v_add_co_ci_u32_e32 v19, vcc_lo, v1, v19, vcc_lo
	v_add_co_u32 v20, vcc_lo, v0, v20
	v_add_co_ci_u32_e32 v21, vcc_lo, v1, v21, vcc_lo
	v_add_co_u32 v24, vcc_lo, v0, v24
	v_lshlrev_b64 v[26:27], 4, v[150:151]
	v_add_nc_u32_e32 v150, 0x271, v146
	v_add_co_ci_u32_e32 v25, vcc_lo, v1, v25, vcc_lo
	s_waitcnt lgkmcnt(3)
	global_store_dwordx4 v[22:23], v[2:5], off
	s_waitcnt lgkmcnt(2)
	global_store_dwordx4 v[18:19], v[6:9], off
	;; [unrolled: 2-line block ×4, first 2 shown]
	v_lshlrev_b64 v[18:19], 4, v[150:151]
	v_add_nc_u32_e32 v150, 0x2ee, v146
	ds_read_b128 v[2:5], v28 offset:8000
	ds_read_b128 v[6:9], v28 offset:10000
	;; [unrolled: 1-line block ×4, first 2 shown]
	v_add_co_u32 v20, vcc_lo, v0, v26
	v_lshlrev_b64 v[22:23], 4, v[150:151]
	v_add_nc_u32_e32 v150, 0x36b, v146
	v_add_co_ci_u32_e32 v21, vcc_lo, v1, v27, vcc_lo
	v_add_co_u32 v18, vcc_lo, v0, v18
	v_lshlrev_b64 v[24:25], 4, v[150:151]
	v_add_co_ci_u32_e32 v19, vcc_lo, v1, v19, vcc_lo
	v_add_co_u32 v22, vcc_lo, v0, v22
	v_add_co_ci_u32_e32 v23, vcc_lo, v1, v23, vcc_lo
	v_add_nc_u32_e32 v150, 0x3e8, v146
	v_add_co_u32 v24, vcc_lo, v0, v24
	v_add_co_ci_u32_e32 v25, vcc_lo, v1, v25, vcc_lo
	v_lshlrev_b64 v[26:27], 4, v[150:151]
	v_add_nc_u32_e32 v150, 0x465, v146
	s_waitcnt lgkmcnt(3)
	global_store_dwordx4 v[20:21], v[2:5], off
	s_waitcnt lgkmcnt(2)
	global_store_dwordx4 v[18:19], v[6:9], off
	;; [unrolled: 2-line block ×4, first 2 shown]
	ds_read_b128 v[2:5], v28 offset:16000
	ds_read_b128 v[6:9], v28 offset:18000
	;; [unrolled: 1-line block ×4, first 2 shown]
	v_lshlrev_b64 v[18:19], 4, v[150:151]
	v_add_nc_u32_e32 v150, 0x4e2, v146
	v_add_co_u32 v20, vcc_lo, v0, v26
	v_add_co_ci_u32_e32 v21, vcc_lo, v1, v27, vcc_lo
	v_lshlrev_b64 v[22:23], 4, v[150:151]
	v_add_nc_u32_e32 v150, 0x55f, v146
	v_add_co_u32 v18, vcc_lo, v0, v18
	v_add_co_ci_u32_e32 v19, vcc_lo, v1, v19, vcc_lo
	v_lshlrev_b64 v[24:25], 4, v[150:151]
	v_add_nc_u32_e32 v150, 0x5dc, v146
	v_add_co_u32 v22, vcc_lo, v0, v22
	s_waitcnt lgkmcnt(3)
	global_store_dwordx4 v[20:21], v[2:5], off
	v_add_co_ci_u32_e32 v23, vcc_lo, v1, v23, vcc_lo
	v_lshlrev_b64 v[2:3], 4, v[150:151]
	v_add_nc_u32_e32 v150, 0x659, v146
	v_add_co_u32 v24, vcc_lo, v0, v24
	v_add_co_ci_u32_e32 v25, vcc_lo, v1, v25, vcc_lo
	v_lshlrev_b64 v[20:21], 4, v[150:151]
	v_add_nc_u32_e32 v150, 0x6d6, v146
	s_waitcnt lgkmcnt(2)
	global_store_dwordx4 v[18:19], v[6:9], off
	s_waitcnt lgkmcnt(1)
	global_store_dwordx4 v[22:23], v[10:13], off
	;; [unrolled: 2-line block ×3, first 2 shown]
	v_add_co_u32 v18, vcc_lo, v0, v2
	v_add_co_ci_u32_e32 v19, vcc_lo, v1, v3, vcc_lo
	ds_read_b128 v[2:5], v28 offset:24000
	ds_read_b128 v[6:9], v28 offset:26000
	ds_read_b128 v[10:13], v28 offset:28000
	ds_read_b128 v[14:17], v28 offset:30000
	v_lshlrev_b64 v[22:23], 4, v[150:151]
	v_add_nc_u32_e32 v150, 0x753, v146
	v_add_co_u32 v20, vcc_lo, v0, v20
	v_add_co_ci_u32_e32 v21, vcc_lo, v1, v21, vcc_lo
	v_lshlrev_b64 v[24:25], 4, v[150:151]
	v_add_co_u32 v22, vcc_lo, v0, v22
	v_add_co_ci_u32_e32 v23, vcc_lo, v1, v23, vcc_lo
	v_add_co_u32 v24, vcc_lo, v0, v24
	v_add_co_ci_u32_e32 v25, vcc_lo, v1, v25, vcc_lo
	v_cmp_eq_u32_e32 vcc_lo, 0x7c, v146
	s_waitcnt lgkmcnt(3)
	global_store_dwordx4 v[18:19], v[2:5], off
	s_waitcnt lgkmcnt(2)
	global_store_dwordx4 v[20:21], v[6:9], off
	;; [unrolled: 2-line block ×4, first 2 shown]
	s_and_b32 exec_lo, exec_lo, vcc_lo
	s_cbranch_execz .LBB0_30
; %bb.29:
	v_mov_b32_e32 v2, 0
	v_add_co_u32 v0, vcc_lo, 0x7800, v0
	v_add_co_ci_u32_e32 v1, vcc_lo, 0, v1, vcc_lo
	ds_read_b128 v[2:5], v2 offset:32000
	s_waitcnt lgkmcnt(0)
	global_store_dwordx4 v[0:1], v[2:5], off offset:1280
.LBB0_30:
	s_endpgm
	.section	.rodata,"a",@progbits
	.p2align	6, 0x0
	.amdhsa_kernel fft_rtc_fwd_len2000_factors_5_5_5_16_wgs_125_tpt_125_halfLds_dp_op_CI_CI_unitstride_sbrr_R2C_dirReg
		.amdhsa_group_segment_fixed_size 0
		.amdhsa_private_segment_fixed_size 0
		.amdhsa_kernarg_size 104
		.amdhsa_user_sgpr_count 6
		.amdhsa_user_sgpr_private_segment_buffer 1
		.amdhsa_user_sgpr_dispatch_ptr 0
		.amdhsa_user_sgpr_queue_ptr 0
		.amdhsa_user_sgpr_kernarg_segment_ptr 1
		.amdhsa_user_sgpr_dispatch_id 0
		.amdhsa_user_sgpr_flat_scratch_init 0
		.amdhsa_user_sgpr_private_segment_size 0
		.amdhsa_wavefront_size32 1
		.amdhsa_uses_dynamic_stack 0
		.amdhsa_system_sgpr_private_segment_wavefront_offset 0
		.amdhsa_system_sgpr_workgroup_id_x 1
		.amdhsa_system_sgpr_workgroup_id_y 0
		.amdhsa_system_sgpr_workgroup_id_z 0
		.amdhsa_system_sgpr_workgroup_info 0
		.amdhsa_system_vgpr_workitem_id 0
		.amdhsa_next_free_vgpr 194
		.amdhsa_next_free_sgpr 27
		.amdhsa_reserve_vcc 1
		.amdhsa_reserve_flat_scratch 0
		.amdhsa_float_round_mode_32 0
		.amdhsa_float_round_mode_16_64 0
		.amdhsa_float_denorm_mode_32 3
		.amdhsa_float_denorm_mode_16_64 3
		.amdhsa_dx10_clamp 1
		.amdhsa_ieee_mode 1
		.amdhsa_fp16_overflow 0
		.amdhsa_workgroup_processor_mode 1
		.amdhsa_memory_ordered 1
		.amdhsa_forward_progress 0
		.amdhsa_shared_vgpr_count 0
		.amdhsa_exception_fp_ieee_invalid_op 0
		.amdhsa_exception_fp_denorm_src 0
		.amdhsa_exception_fp_ieee_div_zero 0
		.amdhsa_exception_fp_ieee_overflow 0
		.amdhsa_exception_fp_ieee_underflow 0
		.amdhsa_exception_fp_ieee_inexact 0
		.amdhsa_exception_int_div_zero 0
	.end_amdhsa_kernel
	.text
.Lfunc_end0:
	.size	fft_rtc_fwd_len2000_factors_5_5_5_16_wgs_125_tpt_125_halfLds_dp_op_CI_CI_unitstride_sbrr_R2C_dirReg, .Lfunc_end0-fft_rtc_fwd_len2000_factors_5_5_5_16_wgs_125_tpt_125_halfLds_dp_op_CI_CI_unitstride_sbrr_R2C_dirReg
                                        ; -- End function
	.section	.AMDGPU.csdata,"",@progbits
; Kernel info:
; codeLenInByte = 15712
; NumSgprs: 29
; NumVgprs: 194
; ScratchSize: 0
; MemoryBound: 0
; FloatMode: 240
; IeeeMode: 1
; LDSByteSize: 0 bytes/workgroup (compile time only)
; SGPRBlocks: 3
; VGPRBlocks: 24
; NumSGPRsForWavesPerEU: 29
; NumVGPRsForWavesPerEU: 194
; Occupancy: 4
; WaveLimiterHint : 1
; COMPUTE_PGM_RSRC2:SCRATCH_EN: 0
; COMPUTE_PGM_RSRC2:USER_SGPR: 6
; COMPUTE_PGM_RSRC2:TRAP_HANDLER: 0
; COMPUTE_PGM_RSRC2:TGID_X_EN: 1
; COMPUTE_PGM_RSRC2:TGID_Y_EN: 0
; COMPUTE_PGM_RSRC2:TGID_Z_EN: 0
; COMPUTE_PGM_RSRC2:TIDIG_COMP_CNT: 0
	.text
	.p2alignl 6, 3214868480
	.fill 48, 4, 3214868480
	.type	__hip_cuid_827e1dd12109c310,@object ; @__hip_cuid_827e1dd12109c310
	.section	.bss,"aw",@nobits
	.globl	__hip_cuid_827e1dd12109c310
__hip_cuid_827e1dd12109c310:
	.byte	0                               ; 0x0
	.size	__hip_cuid_827e1dd12109c310, 1

	.ident	"AMD clang version 19.0.0git (https://github.com/RadeonOpenCompute/llvm-project roc-6.4.0 25133 c7fe45cf4b819c5991fe208aaa96edf142730f1d)"
	.section	".note.GNU-stack","",@progbits
	.addrsig
	.addrsig_sym __hip_cuid_827e1dd12109c310
	.amdgpu_metadata
---
amdhsa.kernels:
  - .args:
      - .actual_access:  read_only
        .address_space:  global
        .offset:         0
        .size:           8
        .value_kind:     global_buffer
      - .offset:         8
        .size:           8
        .value_kind:     by_value
      - .actual_access:  read_only
        .address_space:  global
        .offset:         16
        .size:           8
        .value_kind:     global_buffer
      - .actual_access:  read_only
        .address_space:  global
        .offset:         24
        .size:           8
        .value_kind:     global_buffer
      - .actual_access:  read_only
        .address_space:  global
        .offset:         32
        .size:           8
        .value_kind:     global_buffer
      - .offset:         40
        .size:           8
        .value_kind:     by_value
      - .actual_access:  read_only
        .address_space:  global
        .offset:         48
        .size:           8
        .value_kind:     global_buffer
      - .actual_access:  read_only
        .address_space:  global
        .offset:         56
        .size:           8
        .value_kind:     global_buffer
      - .offset:         64
        .size:           4
        .value_kind:     by_value
      - .actual_access:  read_only
        .address_space:  global
        .offset:         72
        .size:           8
        .value_kind:     global_buffer
      - .actual_access:  read_only
        .address_space:  global
        .offset:         80
        .size:           8
        .value_kind:     global_buffer
      - .actual_access:  read_only
        .address_space:  global
        .offset:         88
        .size:           8
        .value_kind:     global_buffer
      - .actual_access:  write_only
        .address_space:  global
        .offset:         96
        .size:           8
        .value_kind:     global_buffer
    .group_segment_fixed_size: 0
    .kernarg_segment_align: 8
    .kernarg_segment_size: 104
    .language:       OpenCL C
    .language_version:
      - 2
      - 0
    .max_flat_workgroup_size: 125
    .name:           fft_rtc_fwd_len2000_factors_5_5_5_16_wgs_125_tpt_125_halfLds_dp_op_CI_CI_unitstride_sbrr_R2C_dirReg
    .private_segment_fixed_size: 0
    .sgpr_count:     29
    .sgpr_spill_count: 0
    .symbol:         fft_rtc_fwd_len2000_factors_5_5_5_16_wgs_125_tpt_125_halfLds_dp_op_CI_CI_unitstride_sbrr_R2C_dirReg.kd
    .uniform_work_group_size: 1
    .uses_dynamic_stack: false
    .vgpr_count:     194
    .vgpr_spill_count: 0
    .wavefront_size: 32
    .workgroup_processor_mode: 1
amdhsa.target:   amdgcn-amd-amdhsa--gfx1030
amdhsa.version:
  - 1
  - 2
...

	.end_amdgpu_metadata
